;; amdgpu-corpus repo=triton-lang/triton kind=triton arch=gfx1100 opt=O3 lang=triton
	.amdgcn_target "amdgcn-amd-amdhsa--gfx1100"
	.amdhsa_code_object_version 5
	.text
	.globl	_attn_bwd                       ; -- Begin function _attn_bwd
	.p2align	8
	.type	_attn_bwd,@function
_attn_bwd:                              ; @_attn_bwd
.Lfunc_begin0:
	.file	1 "/root/src/amdgpu-assembly/repos/triton-lang__triton-aot" "attention_bwd.py"
	.loc	1 126 0                         ; attention_bwd.py:126:0
	.cfi_sections .debug_frame
	.cfi_startproc
; %bb.0:
	s_load_b64 s[40:41], s[0:1], 0x60
	v_mov_b32_e32 v136, v0
.Ltmp0:
	.loc	1 144 55 prologue_end           ; attention_bwd.py:144:55
	s_abs_i32 s13, s15
	s_clause 0x3
	s_load_b256 s[4:11], s[0:1], 0x40
	s_load_b128 s[36:39], s[0:1], 0x0
	s_load_b64 s[34:35], s[0:1], 0x10
	s_load_b256 s[16:23], s[0:1], 0x20
	.loc	1 165 36                        ; attention_bwd.py:165:36
	v_lshrrev_b32_e32 v32, 6, v136
	.loc	1 171 58                        ; attention_bwd.py:171:58
	v_and_b32_e32 v19, 63, v136
	s_load_b32 s57, s[0:1], 0x18
	s_mov_b32 s58, 0x76543210
	s_delay_alu instid0(VALU_DEP_2)
	.loc	1 165 36                        ; attention_bwd.py:165:36
	v_or_b32_e32 v1, 2, v32
	v_or_b32_e32 v2, 4, v32
	;; [unrolled: 1-line block ×9, first 2 shown]
	.loc	1 144 55                        ; attention_bwd.py:144:55
	s_waitcnt lgkmcnt(0)
	s_abs_i32 s25, s40
	s_clause 0x5                            ; 24-byte Folded Spill
	scratch_store_b32 off, v2, off offset:1120
	scratch_store_b32 off, v3, off offset:1116
	scratch_store_b32 off, v4, off offset:1084
	scratch_store_b32 off, v5, off offset:1052
	scratch_store_b32 off, v6, off offset:1020
	scratch_store_b32 off, v7, off offset:988
	v_cvt_f32_u32_e32 v0, s25
	s_sub_i32 s2, 0, s25
.Ltmp1:
	.loc	1 41 67                         ; attention_bwd.py:41:67 @[ attention_bwd.py:184:50 ]
	s_mul_i32 s54, s11, 24
	s_mul_i32 s52, s11, 40
	;; [unrolled: 1-line block ×3, first 2 shown]
.Ltmp2:
	.loc	1 144 55                        ; attention_bwd.py:144:55
	v_rcp_iflag_f32_e32 v0, v0
	scratch_store_b32 off, v32, off offset:976 ; 4-byte Folded Spill
	v_mul_f32_e32 v0, 0x4f7ffffe, v0
	s_delay_alu instid0(VALU_DEP_1) | instskip(NEXT) | instid1(VALU_DEP_1)
	v_cvt_u32_f32_e32 v0, v0
	v_readfirstlane_b32 s3, v0
	.loc	1 171 58                        ; attention_bwd.py:171:58
	v_bfe_u32 v0, v136, 4, 1
	scratch_store_b32 off, v1, off offset:1124 ; 4-byte Folded Spill
	.loc	1 144 55                        ; attention_bwd.py:144:55
	s_mul_i32 s2, s2, s3
	scratch_store_b32 off, v0, off offset:1872 ; 4-byte Folded Spill
	s_mul_hi_u32 s12, s3, s2
	.loc	1 143 22                        ; attention_bwd.py:143:22
	s_mul_i32 s2, s41, s15
	.loc	1 144 55                        ; attention_bwd.py:144:55
	s_add_i32 s3, s3, s12
	s_xor_b32 s12, s15, s40
	s_mul_hi_u32 s24, s13, s3
	.loc	1 143 32                        ; attention_bwd.py:143:32
	s_ashr_i32 s3, s2, 31
	.loc	1 144 55                        ; attention_bwd.py:144:55
	s_mul_i32 s26, s24, s25
	s_ashr_i32 s12, s12, 31
	s_sub_i32 s26, s13, s26
	s_add_i32 s13, s24, 1
	s_sub_i32 s27, s26, s25
	s_cmp_ge_u32 s26, s25
	s_cselect_b32 s13, s13, s24
	s_cselect_b32 s26, s27, s26
	s_add_i32 s24, s13, 1
	s_cmp_ge_u32 s26, s25
	s_cselect_b32 s13, s24, s13
	s_mov_b32 s24, 0
	s_xor_b32 s13, s13, s12
	s_mov_b32 s25, s24
	s_sub_i32 s12, s13, s12
	s_mov_b32 s26, s24
	.loc	1 144 30 is_stmt 0              ; attention_bwd.py:144:30
	s_mul_i32 s13, s12, s40
	.loc	1 144 47                        ; attention_bwd.py:144:47
	s_mul_i32 s8, s12, s8
	.loc	1 144 30                        ; attention_bwd.py:144:30
	s_sub_i32 s13, s15, s13
	s_mov_b32 s27, s24
	.loc	1 144 23                        ; attention_bwd.py:144:23
	s_mul_i32 s13, s13, s9
	s_mov_b32 s28, s24
	.loc	1 144 35                        ; attention_bwd.py:144:35
	s_add_i32 s8, s8, s13
	s_mov_b32 s29, s24
	.loc	1 144 62                        ; attention_bwd.py:144:62
	s_ashr_i32 s9, s8, 31
	s_mov_b32 s30, s24
	.loc	1 148 9 is_stmt 1               ; attention_bwd.py:148:9
	s_lshl_b64 s[12:13], s[8:9], 1
	s_mov_b32 s31, s24
	s_add_u32 s49, s36, s12
	s_addc_u32 s50, s37, s13
	.loc	1 149 9                         ; attention_bwd.py:149:9
	s_add_u32 s40, s38, s12
	s_addc_u32 s42, s39, s13
	.loc	1 150 9                         ; attention_bwd.py:150:9
	s_add_u32 s15, s34, s12
	s_addc_u32 s33, s35, s13
	.loc	1 151 10                        ; attention_bwd.py:151:10
	s_add_u32 s47, s16, s12
	s_addc_u32 s48, s17, s13
	.loc	1 155 9                         ; attention_bwd.py:155:9
	s_lshl_b64 s[8:9], s[2:3], 2
	s_delay_alu instid0(SALU_CYCLE_1)
	s_add_u32 s45, s4, s8
	s_addc_u32 s46, s5, s9
	.loc	1 156 9                         ; attention_bwd.py:156:9
	s_add_u32 s43, s6, s8
	s_addc_u32 s44, s7, s9
	.loc	1 161 20                        ; attention_bwd.py:161:20
	s_lshl_b32 s14, s14, 7
.Ltmp3:
	.loc	1 41 67                         ; attention_bwd.py:41:67 @[ attention_bwd.py:184:50 ]
	s_lshl_b32 s56, s11, 3
.Ltmp4:
	.loc	1 165 23                        ; attention_bwd.py:165:23
	v_or_b32_e32 v168, s14, v32
	v_or_b32_e32 v1, s14, v1
	;; [unrolled: 1-line block ×3, first 2 shown]
.Ltmp5:
	.loc	1 50 26                         ; attention_bwd.py:50:26 @[ attention_bwd.py:184:50 ]
	v_or_b32_e32 v155, s14, v0
.Ltmp6:
	.loc	1 165 23                        ; attention_bwd.py:165:23
	v_or_b32_e32 v3, s14, v3
	.loc	1 171 38                        ; attention_bwd.py:171:38
	v_mul_lo_u32 v0, s10, v168
	.loc	1 165 23                        ; attention_bwd.py:165:23
	v_or_b32_e32 v4, s14, v4
	.loc	1 171 38                        ; attention_bwd.py:171:38
	v_mul_lo_u32 v10, s10, v1
	;; [unrolled: 4-line block ×4, first 2 shown]
	v_mul_lo_u32 v4, s10, v4
	v_mul_lo_u32 v6, s10, v6
	.loc	1 171 20 is_stmt 0              ; attention_bwd.py:171:20
	v_ashrrev_i32_e32 v1, 31, v0
	.loc	1 165 23 is_stmt 1              ; attention_bwd.py:165:23
	v_or_b32_e32 v7, s14, v7
	.loc	1 171 38                        ; attention_bwd.py:171:38
	v_mul_lo_u32 v14, s10, v5
	.loc	1 171 20 is_stmt 0              ; attention_bwd.py:171:20
	v_ashrrev_i32_e32 v11, 31, v10
	v_ashrrev_i32_e32 v3, 31, v2
	v_lshlrev_b64 v[178:179], 1, v[0:1]
	.loc	1 171 38                        ; attention_bwd.py:171:38
	v_mul_lo_u32 v16, s10, v7
	.loc	1 171 20                        ; attention_bwd.py:171:20
	v_ashrrev_i32_e32 v13, 31, v12
	v_ashrrev_i32_e32 v5, 31, v4
	v_lshlrev_b64 v[42:43], 1, v[10:11]
	v_ashrrev_i32_e32 v7, 31, v6
	v_lshlrev_b64 v[58:59], 1, v[2:3]
	;; [unrolled: 2-line block ×3, first 2 shown]
	v_lshlrev_b64 v[132:133], 1, v[4:5]
	v_add_co_u32 v5, vcc_lo, s40, v178
	v_lshlrev_b64 v[166:167], 1, v[6:7]
	v_add_co_ci_u32_e64 v6, null, s42, v179, vcc_lo
	v_add_co_u32 v7, vcc_lo, s40, v42
	v_ashrrev_i32_e32 v17, 31, v16
	.loc	1 171 69                        ; attention_bwd.py:171:69
	v_mul_lo_u32 v0, s11, v19
	.loc	1 171 20                        ; attention_bwd.py:171:20
	v_lshlrev_b64 v[164:165], 1, v[14:15]
	v_add_co_ci_u32_e64 v10, null, s42, v43, vcc_lo
	v_add_co_u32 v11, vcc_lo, s40, v58
.Ltmp7:
	.loc	1 51 24 is_stmt 1               ; attention_bwd.py:51:24 @[ attention_bwd.py:184:50 ]
	v_ashrrev_i32_e32 v156, 31, v155
.Ltmp8:
	.loc	1 171 20                        ; attention_bwd.py:171:20
	v_add_co_ci_u32_e64 v12, null, s42, v59, vcc_lo
	v_add_co_u32 v13, vcc_lo, s40, v71
	v_lshlrev_b64 v[162:163], 1, v[16:17]
	v_add_co_ci_u32_e64 v14, null, s42, v72, vcc_lo
	v_add_co_u32 v15, vcc_lo, s40, v132
	s_delay_alu instid0(VALU_DEP_1)
	v_add_co_ci_u32_e64 v16, null, s42, v133, vcc_lo
	v_add_co_u32 v17, vcc_lo, s40, v164
.Ltmp9:
	.loc	1 51 24                         ; attention_bwd.py:51:24 @[ attention_bwd.py:184:50 ]
	v_lshlrev_b64 v[3:4], 2, v[155:156]
.Ltmp10:
	.loc	1 171 51                        ; attention_bwd.py:171:51
	v_ashrrev_i32_e32 v1, 31, v0
	.loc	1 171 20 is_stmt 0              ; attention_bwd.py:171:20
	v_add_co_ci_u32_e64 v18, null, s42, v165, vcc_lo
	v_add_co_u32 v22, vcc_lo, s40, v166
	s_delay_alu instid0(VALU_DEP_1) | instskip(SKIP_1) | instid1(VALU_DEP_1)
	v_add_co_ci_u32_e64 v23, null, s42, v167, vcc_lo
	v_add_co_u32 v24, vcc_lo, s40, v162
	v_add_co_ci_u32_e64 v25, null, s42, v163, vcc_lo
	.loc	1 171 51                        ; attention_bwd.py:171:51
	v_lshlrev_b64 v[251:252], 1, v[0:1]
.Ltmp11:
	.loc	1 51 24 is_stmt 1               ; attention_bwd.py:51:24 @[ attention_bwd.py:184:50 ]
	v_add_co_u32 v0, vcc_lo, s45, v3
	s_delay_alu instid0(VALU_DEP_1)
	v_add_co_ci_u32_e64 v1, null, s46, v4, vcc_lo
	s_ashr_i32 s2, s14, 31
	.loc	1 41 67                         ; attention_bwd.py:41:67 @[ attention_bwd.py:184:50 ]
	s_lshl_b32 s55, s11, 4
	s_lshl_b32 s53, s11, 5
	scratch_store_b64 off, v[0:1], off offset:4 ; 8-byte Folded Spill
	.loc	1 64 25                         ; attention_bwd.py:64:25 @[ attention_bwd.py:184:50 ]
	v_add_co_u32 v0, vcc_lo, s43, v3
	s_delay_alu instid0(VALU_DEP_1)
	v_add_co_ci_u32_e64 v1, null, s44, v4, vcc_lo
	scratch_store_b32 off, v9, off offset:980 ; 4-byte Folded Spill
.Ltmp12:
	.loc	1 165 23                        ; attention_bwd.py:165:23
	v_or_b32_e32 v9, s14, v9
.Ltmp13:
	.loc	1 72 28                         ; attention_bwd.py:72:28 @[ attention_bwd.py:184:50 ]
	s_lshl_b32 s0, s10, 4
	scratch_store_b64 off, v[0:1], off offset:228 ; 8-byte Folded Spill
.Ltmp14:
	.loc	1 165 36                        ; attention_bwd.py:165:36
	v_or_b32_e32 v1, 20, v32
	s_ashr_i32 s1, s0, 31
	.loc	1 171 38                        ; attention_bwd.py:171:38
	v_mul_lo_u32 v20, s10, v9
	scratch_store_b32 off, v1, off offset:1176 ; 4-byte Folded Spill
	.loc	1 171 20 is_stmt 0              ; attention_bwd.py:171:20
	v_ashrrev_i32_e32 v21, 31, v20
	s_delay_alu instid0(VALU_DEP_1)
	v_lshlrev_b64 v[182:183], 1, v[20:21]
	.loc	1 165 23 is_stmt 1              ; attention_bwd.py:165:23
	v_or_b32_e32 v20, s14, v1
	.loc	1 165 36 is_stmt 0              ; attention_bwd.py:165:36
	v_or_b32_e32 v1, 22, v32
	scratch_store_b32 off, v8, off offset:984 ; 4-byte Folded Spill
	.loc	1 165 23                        ; attention_bwd.py:165:23
	v_or_b32_e32 v8, s14, v8
	.loc	1 171 38 is_stmt 1              ; attention_bwd.py:171:38
	v_mul_lo_u32 v20, s10, v20
	scratch_store_b32 off, v1, off offset:1172 ; 4-byte Folded Spill
	v_mul_lo_u32 v8, s10, v8
	s_delay_alu instid0(VALU_DEP_1) | instskip(NEXT) | instid1(VALU_DEP_1)
	.loc	1 171 20 is_stmt 0              ; attention_bwd.py:171:20
	v_ashrrev_i32_e32 v9, 31, v8
	v_lshlrev_b64 v[180:181], 1, v[8:9]
	s_delay_alu instid0(VALU_DEP_1) | instskip(NEXT) | instid1(VALU_DEP_1)
	v_add_co_u32 v0, vcc_lo, s40, v180
	v_add_co_ci_u32_e64 v21, null, s42, v181, vcc_lo
	.loc	1 171 51                        ; attention_bwd.py:171:51
	v_add_co_u32 v5, vcc_lo, v5, v251
	s_delay_alu instid0(VALU_DEP_1) | instskip(SKIP_1) | instid1(VALU_DEP_1)
	v_add_co_ci_u32_e64 v6, null, v6, v252, vcc_lo
	v_add_co_u32 v7, vcc_lo, v7, v251
	v_add_co_ci_u32_e64 v8, null, v10, v252, vcc_lo
	v_add_co_u32 v9, vcc_lo, v11, v251
	s_delay_alu instid0(VALU_DEP_1) | instskip(SKIP_1) | instid1(VALU_DEP_1)
	v_add_co_ci_u32_e64 v10, null, v12, v252, vcc_lo
	v_add_co_u32 v11, vcc_lo, v13, v251
	v_add_co_ci_u32_e64 v12, null, v14, v252, vcc_lo
	;; [unrolled: 5-line block ×3, first 2 shown]
	v_add_co_u32 v17, vcc_lo, v22, v251
	s_delay_alu instid0(VALU_DEP_1) | instskip(SKIP_4) | instid1(VALU_DEP_3)
	v_add_co_ci_u32_e64 v18, null, v23, v252, vcc_lo
	v_add_co_u32 v22, vcc_lo, v24, v251
	.loc	1 165 23 is_stmt 1              ; attention_bwd.py:165:23
	v_or_b32_e32 v24, s14, v1
	.loc	1 171 51                        ; attention_bwd.py:171:51
	v_add_co_ci_u32_e64 v23, null, v25, v252, vcc_lo
	v_add_co_u32 v27, vcc_lo, v0, v251
	.loc	1 171 38 is_stmt 0              ; attention_bwd.py:171:38
	v_mul_lo_u32 v24, s10, v24
	.loc	1 171 51                        ; attention_bwd.py:171:51
	v_add_co_ci_u32_e64 v28, null, v21, v252, vcc_lo
	.loc	1 171 20                        ; attention_bwd.py:171:20
	v_ashrrev_i32_e32 v21, 31, v20
	.loc	1 165 36 is_stmt 1              ; attention_bwd.py:165:36
	v_or_b32_e32 v1, 24, v32
	.loc	1 171 20                        ; attention_bwd.py:171:20
	v_add_co_u32 v0, vcc_lo, s40, v182
	s_delay_alu instid0(VALU_DEP_1) | instskip(NEXT) | instid1(VALU_DEP_4)
	v_add_co_ci_u32_e64 v25, null, s42, v183, vcc_lo
	v_lshlrev_b64 v[2:3], 1, v[20:21]
	s_delay_alu instid0(VALU_DEP_4) | instskip(NEXT) | instid1(VALU_DEP_4)
	.loc	1 165 23                        ; attention_bwd.py:165:23
	v_or_b32_e32 v26, s14, v1
	.loc	1 171 51                        ; attention_bwd.py:171:51
	v_add_co_u32 v20, vcc_lo, v0, v251
	scratch_store_b32 off, v1, off offset:1168 ; 4-byte Folded Spill
	v_add_co_ci_u32_e64 v21, null, v25, v252, vcc_lo
	.loc	1 171 20 is_stmt 0              ; attention_bwd.py:171:20
	v_ashrrev_i32_e32 v25, 31, v24
	.loc	1 165 36 is_stmt 1              ; attention_bwd.py:165:36
	v_or_b32_e32 v1, 26, v32
	.loc	1 171 38                        ; attention_bwd.py:171:38
	v_mul_lo_u32 v29, s10, v26
	.loc	1 171 20 is_stmt 0              ; attention_bwd.py:171:20
	v_add_co_u32 v0, vcc_lo, s40, v2
	s_delay_alu instid0(VALU_DEP_4) | instskip(NEXT) | instid1(VALU_DEP_4)
	v_lshlrev_b64 v[134:135], 1, v[24:25]
	.loc	1 165 23 is_stmt 1              ; attention_bwd.py:165:23
	v_or_b32_e32 v24, s14, v1
	.loc	1 171 20                        ; attention_bwd.py:171:20
	v_add_co_ci_u32_e64 v26, null, s42, v3, vcc_lo
	s_delay_alu instid0(VALU_DEP_4) | instskip(NEXT) | instid1(VALU_DEP_3)
	.loc	1 171 51 is_stmt 0              ; attention_bwd.py:171:51
	v_add_co_u32 v34, vcc_lo, v0, v251
	.loc	1 171 38                        ; attention_bwd.py:171:38
	v_mul_lo_u32 v24, s10, v24
	scratch_store_b32 off, v1, off offset:1164 ; 4-byte Folded Spill
	.loc	1 171 51                        ; attention_bwd.py:171:51
	v_add_co_ci_u32_e64 v35, null, v26, v252, vcc_lo
	.loc	1 171 20                        ; attention_bwd.py:171:20
	v_ashrrev_i32_e32 v30, 31, v29
	.loc	1 165 36 is_stmt 1              ; attention_bwd.py:165:36
	v_or_b32_e32 v1, 28, v32
	.loc	1 171 20                        ; attention_bwd.py:171:20
	v_add_co_u32 v0, vcc_lo, s40, v134
	s_delay_alu instid0(VALU_DEP_1) | instskip(NEXT) | instid1(VALU_DEP_4)
	v_add_co_ci_u32_e64 v25, null, s42, v135, vcc_lo
	v_lshlrev_b64 v[153:154], 1, v[29:30]
	s_delay_alu instid0(VALU_DEP_4) | instskip(NEXT) | instid1(VALU_DEP_4)
	.loc	1 165 23                        ; attention_bwd.py:165:23
	v_or_b32_e32 v26, s14, v1
	.loc	1 171 51                        ; attention_bwd.py:171:51
	v_add_co_u32 v29, vcc_lo, v0, v251
	scratch_store_b32 off, v1, off offset:1132 ; 4-byte Folded Spill
	v_add_co_ci_u32_e64 v30, null, v25, v252, vcc_lo
	.loc	1 171 20 is_stmt 0              ; attention_bwd.py:171:20
	v_ashrrev_i32_e32 v25, 31, v24
	.loc	1 165 36 is_stmt 1              ; attention_bwd.py:165:36
	v_or_b32_e32 v1, 30, v32
	.loc	1 171 38                        ; attention_bwd.py:171:38
	v_mul_lo_u32 v31, s10, v26
	.loc	1 171 20 is_stmt 0              ; attention_bwd.py:171:20
	v_add_co_u32 v0, vcc_lo, s40, v153
	s_delay_alu instid0(VALU_DEP_4) | instskip(NEXT) | instid1(VALU_DEP_4)
	v_lshlrev_b64 v[170:171], 1, v[24:25]
	.loc	1 165 23 is_stmt 1              ; attention_bwd.py:165:23
	v_or_b32_e32 v24, s14, v1
	.loc	1 171 20                        ; attention_bwd.py:171:20
	v_add_co_ci_u32_e64 v26, null, s42, v154, vcc_lo
	s_delay_alu instid0(VALU_DEP_4) | instskip(NEXT) | instid1(VALU_DEP_3)
	.loc	1 171 51 is_stmt 0              ; attention_bwd.py:171:51
	v_add_co_u32 v36, vcc_lo, v0, v251
	.loc	1 171 38                        ; attention_bwd.py:171:38
	v_mul_lo_u32 v24, s10, v24
	s_delay_alu instid0(VALU_DEP_3) | instskip(SKIP_2) | instid1(VALU_DEP_1)
	.loc	1 171 51                        ; attention_bwd.py:171:51
	v_add_co_ci_u32_e64 v37, null, v26, v252, vcc_lo
	.loc	1 171 20                        ; attention_bwd.py:171:20
	v_ashrrev_i32_e32 v32, 31, v31
	v_add_co_u32 v0, vcc_lo, s40, v170
	v_add_co_ci_u32_e64 v25, null, s42, v171, vcc_lo
	s_delay_alu instid0(VALU_DEP_3) | instskip(SKIP_1) | instid1(VALU_DEP_4)
	v_lshlrev_b64 v[172:173], 1, v[31:32]
	.loc	1 165 23 is_stmt 1              ; attention_bwd.py:165:23
	v_or_b32_e32 v26, 32, v168
	.loc	1 171 51                        ; attention_bwd.py:171:51
	v_add_co_u32 v38, vcc_lo, v0, v251
	s_delay_alu instid0(VALU_DEP_1) | instskip(SKIP_1) | instid1(VALU_DEP_4)
	v_add_co_ci_u32_e64 v39, null, v25, v252, vcc_lo
	.loc	1 171 20 is_stmt 0              ; attention_bwd.py:171:20
	v_ashrrev_i32_e32 v25, 31, v24
	.loc	1 171 38                        ; attention_bwd.py:171:38
	v_mul_lo_u32 v31, s10, v26
	.loc	1 171 20                        ; attention_bwd.py:171:20
	v_add_co_u32 v0, vcc_lo, s40, v172
	s_delay_alu instid0(VALU_DEP_1) | instskip(NEXT) | instid1(VALU_DEP_4)
	v_add_co_ci_u32_e64 v26, null, s42, v173, vcc_lo
	v_lshlrev_b64 v[174:175], 1, v[24:25]
	.loc	1 165 23 is_stmt 1              ; attention_bwd.py:165:23
	v_or_b32_e32 v24, 34, v168
	s_delay_alu instid0(VALU_DEP_4) | instskip(NEXT) | instid1(VALU_DEP_1)
	.loc	1 171 51                        ; attention_bwd.py:171:51
	v_add_co_u32 v40, vcc_lo, v0, v251
	v_add_co_ci_u32_e64 v41, null, v26, v252, vcc_lo
	s_delay_alu instid0(VALU_DEP_3) | instskip(SKIP_2) | instid1(VALU_DEP_1)
	.loc	1 171 38 is_stmt 0              ; attention_bwd.py:171:38
	v_mul_lo_u32 v24, s10, v24
	.loc	1 171 20                        ; attention_bwd.py:171:20
	v_ashrrev_i32_e32 v32, 31, v31
	v_add_co_u32 v0, vcc_lo, s40, v174
	v_add_co_ci_u32_e64 v25, null, s42, v175, vcc_lo
	s_delay_alu instid0(VALU_DEP_3) | instskip(SKIP_1) | instid1(VALU_DEP_4)
	v_lshlrev_b64 v[32:33], 1, v[31:32]
	.loc	1 165 23 is_stmt 1              ; attention_bwd.py:165:23
	v_or_b32_e32 v26, 36, v168
	.loc	1 171 51                        ; attention_bwd.py:171:51
	v_add_co_u32 v44, vcc_lo, v0, v251
	s_delay_alu instid0(VALU_DEP_1) | instskip(SKIP_1) | instid1(VALU_DEP_4)
	v_add_co_ci_u32_e64 v45, null, v25, v252, vcc_lo
	.loc	1 171 20 is_stmt 0              ; attention_bwd.py:171:20
	v_ashrrev_i32_e32 v25, 31, v24
	.loc	1 171 38                        ; attention_bwd.py:171:38
	v_mul_lo_u32 v31, s10, v26
	.loc	1 171 20                        ; attention_bwd.py:171:20
	v_add_co_u32 v0, vcc_lo, s40, v32
	s_delay_alu instid0(VALU_DEP_1) | instskip(NEXT) | instid1(VALU_DEP_4)
	v_add_co_ci_u32_e64 v26, null, s42, v33, vcc_lo
	v_lshlrev_b64 v[49:50], 1, v[24:25]
	.loc	1 165 23 is_stmt 1              ; attention_bwd.py:165:23
	v_or_b32_e32 v24, 38, v168
	s_delay_alu instid0(VALU_DEP_4)
	.loc	1 171 51                        ; attention_bwd.py:171:51
	v_add_co_u32 v47, vcc_lo, v0, v251
	.loc	1 165 23                        ; attention_bwd.py:165:23
	s_clause 0x1                            ; 12-byte Folded Spill
	scratch_store_b32 off, v1, off offset:1128
	scratch_store_b64 off, v[32:33], off offset:1716
	.loc	1 171 38                        ; attention_bwd.py:171:38
	v_mul_lo_u32 v24, s10, v24
	.loc	1 171 51 is_stmt 0              ; attention_bwd.py:171:51
	v_add_co_ci_u32_e64 v48, null, v26, v252, vcc_lo
	.loc	1 171 20                        ; attention_bwd.py:171:20
	v_ashrrev_i32_e32 v32, 31, v31
	v_add_co_u32 v0, vcc_lo, s40, v49
	s_delay_alu instid0(VALU_DEP_1) | instskip(NEXT) | instid1(VALU_DEP_3)
	v_add_co_ci_u32_e64 v25, null, s42, v50, vcc_lo
	v_lshlrev_b64 v[32:33], 1, v[31:32]
	.loc	1 165 23 is_stmt 1              ; attention_bwd.py:165:23
	scratch_store_b64 off, v[49:50], off offset:1724 ; 8-byte Folded Spill
	v_or_b32_e32 v26, 40, v168
	.loc	1 171 51                        ; attention_bwd.py:171:51
	v_add_co_u32 v50, vcc_lo, v0, v251
	s_delay_alu instid0(VALU_DEP_1) | instskip(SKIP_1) | instid1(VALU_DEP_4)
	v_add_co_ci_u32_e64 v51, null, v25, v252, vcc_lo
	.loc	1 171 20 is_stmt 0              ; attention_bwd.py:171:20
	v_ashrrev_i32_e32 v25, 31, v24
	.loc	1 171 38                        ; attention_bwd.py:171:38
	v_mul_lo_u32 v31, s10, v26
	.loc	1 171 20                        ; attention_bwd.py:171:20
	v_add_co_u32 v0, vcc_lo, s40, v32
	s_delay_alu instid0(VALU_DEP_1) | instskip(NEXT) | instid1(VALU_DEP_4)
	v_add_co_ci_u32_e64 v26, null, s42, v33, vcc_lo
	v_lshlrev_b64 v[55:56], 1, v[24:25]
	.loc	1 165 23 is_stmt 1              ; attention_bwd.py:165:23
	v_or_b32_e32 v24, 42, v168
	s_delay_alu instid0(VALU_DEP_4)
	.loc	1 171 51                        ; attention_bwd.py:171:51
	v_add_co_u32 v53, vcc_lo, v0, v251
	.loc	1 165 23                        ; attention_bwd.py:165:23
	scratch_store_b64 off, v[32:33], off offset:1732 ; 8-byte Folded Spill
	.loc	1 171 51                        ; attention_bwd.py:171:51
	v_add_co_ci_u32_e64 v54, null, v26, v252, vcc_lo
	.loc	1 171 38 is_stmt 0              ; attention_bwd.py:171:38
	v_mul_lo_u32 v24, s10, v24
	.loc	1 171 20                        ; attention_bwd.py:171:20
	v_ashrrev_i32_e32 v32, 31, v31
	v_add_co_u32 v0, vcc_lo, s40, v55
	s_delay_alu instid0(VALU_DEP_1) | instskip(NEXT) | instid1(VALU_DEP_3)
	v_add_co_ci_u32_e64 v25, null, s42, v56, vcc_lo
	v_lshlrev_b64 v[31:32], 1, v[31:32]
	.loc	1 165 23 is_stmt 1              ; attention_bwd.py:165:23
	scratch_store_b64 off, v[55:56], off offset:1740 ; 8-byte Folded Spill
	.loc	1 171 51                        ; attention_bwd.py:171:51
	v_add_co_u32 v56, vcc_lo, v0, v251
	s_delay_alu instid0(VALU_DEP_1) | instskip(SKIP_2) | instid1(VALU_DEP_1)
	v_add_co_ci_u32_e64 v57, null, v25, v252, vcc_lo
	.loc	1 171 20 is_stmt 0              ; attention_bwd.py:171:20
	v_ashrrev_i32_e32 v25, 31, v24
	v_add_co_u32 v0, vcc_lo, s40, v31
	v_add_co_ci_u32_e64 v26, null, s42, v32, vcc_lo
	s_delay_alu instid0(VALU_DEP_3) | instskip(NEXT) | instid1(VALU_DEP_3)
	v_lshlrev_b64 v[24:25], 1, v[24:25]
	.loc	1 171 51                        ; attention_bwd.py:171:51
	v_add_co_u32 v60, vcc_lo, v0, v251
	s_delay_alu instid0(VALU_DEP_1) | instskip(SKIP_4) | instid1(VALU_DEP_1)
	v_add_co_ci_u32_e64 v61, null, v26, v252, vcc_lo
	s_clause 0x1                            ; 16-byte Folded Spill
	scratch_store_b64 off, v[31:32], off offset:1748
	scratch_store_b64 off, v[24:25], off offset:1756
	.loc	1 171 20                        ; attention_bwd.py:171:20
	v_add_co_u32 v0, vcc_lo, s40, v24
	v_add_co_ci_u32_e64 v24, null, s42, v25, vcc_lo
	s_delay_alu instid0(VALU_DEP_2) | instskip(SKIP_1) | instid1(VALU_DEP_3)
	.loc	1 171 51                        ; attention_bwd.py:171:51
	v_add_co_u32 v63, vcc_lo, v0, v251
	.loc	1 165 23 is_stmt 1              ; attention_bwd.py:165:23
	v_or_b32_e32 v0, 44, v168
	.loc	1 171 51                        ; attention_bwd.py:171:51
	v_add_co_ci_u32_e64 v64, null, v24, v252, vcc_lo
	s_delay_alu instid0(VALU_DEP_2) | instskip(NEXT) | instid1(VALU_DEP_1)
	.loc	1 171 38 is_stmt 0              ; attention_bwd.py:171:38
	v_mul_lo_u32 v24, s10, v0
	.loc	1 171 20                        ; attention_bwd.py:171:20
	v_ashrrev_i32_e32 v25, 31, v24
	s_delay_alu instid0(VALU_DEP_1) | instskip(SKIP_2) | instid1(VALU_DEP_1)
	v_lshlrev_b64 v[0:1], 1, v[24:25]
	scratch_store_b64 off, v[0:1], off offset:1764 ; 8-byte Folded Spill
	v_add_co_u32 v0, vcc_lo, s40, v0
	v_add_co_ci_u32_e64 v24, null, s42, v1, vcc_lo
	s_delay_alu instid0(VALU_DEP_2) | instskip(SKIP_1) | instid1(VALU_DEP_3)
	.loc	1 171 51                        ; attention_bwd.py:171:51
	v_add_co_u32 v66, vcc_lo, v0, v251
	.loc	1 165 23 is_stmt 1              ; attention_bwd.py:165:23
	v_or_b32_e32 v0, 46, v168
	.loc	1 171 51                        ; attention_bwd.py:171:51
	v_add_co_ci_u32_e64 v67, null, v24, v252, vcc_lo
	s_delay_alu instid0(VALU_DEP_2) | instskip(NEXT) | instid1(VALU_DEP_1)
	.loc	1 171 38 is_stmt 0              ; attention_bwd.py:171:38
	v_mul_lo_u32 v24, s10, v0
	.loc	1 171 20                        ; attention_bwd.py:171:20
	v_ashrrev_i32_e32 v25, 31, v24
	s_delay_alu instid0(VALU_DEP_1) | instskip(SKIP_2) | instid1(VALU_DEP_1)
	v_lshlrev_b64 v[0:1], 1, v[24:25]
	scratch_store_b64 off, v[0:1], off offset:1772 ; 8-byte Folded Spill
	;; [unrolled: 17-line block ×8, first 2 shown]
	v_add_co_u32 v0, vcc_lo, s40, v0
	v_add_co_ci_u32_e64 v24, null, s42, v1, vcc_lo
	s_delay_alu instid0(VALU_DEP_2) | instskip(SKIP_1) | instid1(VALU_DEP_3)
	.loc	1 171 51                        ; attention_bwd.py:171:51
	v_add_co_u32 v84, vcc_lo, v0, v251
	.loc	1 165 23 is_stmt 1              ; attention_bwd.py:165:23
	v_or_b32_e32 v0, 60, v168
	.loc	1 171 51                        ; attention_bwd.py:171:51
	v_add_co_ci_u32_e64 v85, null, v24, v252, vcc_lo
	s_delay_alu instid0(VALU_DEP_2) | instskip(NEXT) | instid1(VALU_DEP_1)
	.loc	1 171 38 is_stmt 0              ; attention_bwd.py:171:38
	v_mul_lo_u32 v24, s10, v0
	.loc	1 171 20                        ; attention_bwd.py:171:20
	v_ashrrev_i32_e32 v25, 31, v24
	s_delay_alu instid0(VALU_DEP_1) | instskip(NEXT) | instid1(VALU_DEP_1)
	v_lshlrev_b64 v[211:212], 1, v[24:25]
	v_add_co_u32 v0, vcc_lo, s40, v211
	s_delay_alu instid0(VALU_DEP_1) | instskip(NEXT) | instid1(VALU_DEP_2)
	v_add_co_ci_u32_e64 v24, null, s42, v212, vcc_lo
	.loc	1 171 51                        ; attention_bwd.py:171:51
	v_add_co_u32 v86, vcc_lo, v0, v251
	.loc	1 165 23 is_stmt 1              ; attention_bwd.py:165:23
	v_or_b32_e32 v0, 62, v168
	s_delay_alu instid0(VALU_DEP_3) | instskip(NEXT) | instid1(VALU_DEP_2)
	.loc	1 171 51                        ; attention_bwd.py:171:51
	v_add_co_ci_u32_e64 v87, null, v24, v252, vcc_lo
	.loc	1 171 38 is_stmt 0              ; attention_bwd.py:171:38
	v_mul_lo_u32 v24, s10, v0
	s_delay_alu instid0(VALU_DEP_1) | instskip(NEXT) | instid1(VALU_DEP_1)
	.loc	1 171 20                        ; attention_bwd.py:171:20
	v_ashrrev_i32_e32 v25, 31, v24
	v_lshlrev_b64 v[213:214], 1, v[24:25]
	s_delay_alu instid0(VALU_DEP_1) | instskip(NEXT) | instid1(VALU_DEP_1)
	v_add_co_u32 v0, vcc_lo, s40, v213
	v_add_co_ci_u32_e64 v24, null, s42, v214, vcc_lo
	s_delay_alu instid0(VALU_DEP_2) | instskip(SKIP_1) | instid1(VALU_DEP_3)
	.loc	1 171 51                        ; attention_bwd.py:171:51
	v_add_co_u32 v88, vcc_lo, v0, v251
	.loc	1 165 23 is_stmt 1              ; attention_bwd.py:165:23
	v_or_b32_e32 v0, 64, v168
	.loc	1 171 51                        ; attention_bwd.py:171:51
	v_add_co_ci_u32_e64 v89, null, v24, v252, vcc_lo
	s_delay_alu instid0(VALU_DEP_2) | instskip(NEXT) | instid1(VALU_DEP_1)
	.loc	1 171 38 is_stmt 0              ; attention_bwd.py:171:38
	v_mul_lo_u32 v24, s10, v0
	.loc	1 171 20                        ; attention_bwd.py:171:20
	v_ashrrev_i32_e32 v25, 31, v24
	s_delay_alu instid0(VALU_DEP_1) | instskip(NEXT) | instid1(VALU_DEP_1)
	v_lshlrev_b64 v[176:177], 1, v[24:25]
	v_add_co_u32 v0, vcc_lo, s40, v176
	s_delay_alu instid0(VALU_DEP_1) | instskip(NEXT) | instid1(VALU_DEP_2)
	v_add_co_ci_u32_e64 v24, null, s42, v177, vcc_lo
	.loc	1 171 51                        ; attention_bwd.py:171:51
	v_add_co_u32 v90, vcc_lo, v0, v251
	.loc	1 165 23 is_stmt 1              ; attention_bwd.py:165:23
	v_or_b32_e32 v0, 0x42, v168
	s_delay_alu instid0(VALU_DEP_3) | instskip(NEXT) | instid1(VALU_DEP_2)
	.loc	1 171 51                        ; attention_bwd.py:171:51
	v_add_co_ci_u32_e64 v91, null, v24, v252, vcc_lo
	.loc	1 171 38 is_stmt 0              ; attention_bwd.py:171:38
	v_mul_lo_u32 v24, s10, v0
	s_delay_alu instid0(VALU_DEP_1) | instskip(NEXT) | instid1(VALU_DEP_1)
	.loc	1 171 20                        ; attention_bwd.py:171:20
	v_ashrrev_i32_e32 v25, 31, v24
	v_lshlrev_b64 v[217:218], 1, v[24:25]
	s_delay_alu instid0(VALU_DEP_1) | instskip(NEXT) | instid1(VALU_DEP_1)
	;; [unrolled: 33-line block ×17, first 2 shown]
	v_add_co_u32 v0, vcc_lo, s40, v25
	v_add_co_ci_u32_e64 v24, null, s42, v26, vcc_lo
	s_delay_alu instid0(VALU_DEP_2)
	.loc	1 171 51                        ; attention_bwd.py:171:51
	v_add_co_u32 v160, vcc_lo, v0, v251
	.loc	1 171 16                        ; attention_bwd.py:171:16
	s_clause 0x1
	global_load_u16 v33, v[5:6], off
	global_load_u16 v0, v[7:8], off
	v_and_b32_e32 v5, 16, v136
	.loc	1 171 51                        ; attention_bwd.py:171:51
	v_add_co_ci_u32_e64 v161, null, v24, v252, vcc_lo
	s_delay_alu instid0(VALU_DEP_2) | instskip(SKIP_1) | instid1(VALU_DEP_1)
	v_cmp_eq_u32_e32 vcc_lo, 0, v5
	.loc	1 165 36 is_stmt 1              ; attention_bwd.py:165:36
	v_bfe_i32 v5, v136, 6, 1
	.loc	1 171 16                        ; attention_bwd.py:171:16
	v_and_b32_e32 v5, 0x90, v5
	.loc	1 165 36                        ; attention_bwd.py:165:36
	v_and_b32_e32 v253, 15, v136
	s_delay_alu instid0(VALU_DEP_1)
	.loc	1 171 16                        ; attention_bwd.py:171:16
	v_lshlrev_b32_e32 v7, 7, v253
	s_waitcnt vmcnt(0)
	scratch_store_b32 off, v0, off offset:292 ; 4-byte Folded Spill
	global_load_u16 v0, v[9:10], off
	s_waitcnt vmcnt(0)
	scratch_store_b32 off, v0, off offset:196 ; 4-byte Folded Spill
	global_load_u16 v0, v[11:12], off
	s_waitcnt vmcnt(0)
	scratch_store_b32 off, v0, off offset:36 ; 4-byte Folded Spill
	s_clause 0x2
	global_load_u16 v62, v[13:14], off
	global_load_u16 v46, v[15:16], off
	;; [unrolled: 1-line block ×3, first 2 shown]
	s_waitcnt vmcnt(0)
	scratch_store_b32 off, v0, off offset:260 ; 4-byte Folded Spill
	global_load_u16 v0, v[22:23], off
	s_waitcnt vmcnt(0)
	scratch_store_b32 off, v0, off offset:68 ; 4-byte Folded Spill
	s_clause 0x3
	global_load_u16 v65, v[27:28], off
	global_load_u16 v49, v[20:21], off
	;; [unrolled: 1-line block ×4, first 2 shown]
	v_dual_mov_b32 v21, v178 :: v_dual_mov_b32 v22, v179
	s_waitcnt vmcnt(0)
	scratch_store_b32 off, v0, off offset:100 ; 4-byte Folded Spill
	s_clause 0x3
	global_load_u16 v68, v[36:37], off
	global_load_u16 v52, v[38:39], off
	global_load_u16 v37, v[40:41], off
	global_load_u16 v0, v[44:45], off
	s_waitcnt vmcnt(0)
	scratch_store_b32 off, v0, off offset:132 ; 4-byte Folded Spill
	s_clause 0x3
	global_load_u16 v4, v[47:48], off
	global_load_u16 v55, v[50:51], off
	global_load_u16 v39, v[53:54], off
	global_load_u16 v0, v[56:57], off
	;; [unrolled: 7-line block ×3, first 2 shown]
	global_load_u16 v75, v[74:75], off
	global_load_u16 v60, v[76:77], off
	;; [unrolled: 1-line block ×28, first 2 shown]
	s_clause 0xb
	global_load_u16 v86, v[130:131], off
	global_load_u16 v78, v[137:138], off
	;; [unrolled: 1-line block ×12, first 2 shown]
	v_mov_b32_e32 v156, v136
	v_lshlrev_b32_e32 v0, 1, v19
	.loc	1 165 36                        ; attention_bwd.py:165:36
	v_and_b32_e32 v138, 0x60, v136
	s_clause 0x3                            ; 32-byte Folded Spill
	scratch_store_b64 off, v[2:3], off offset:1892
	scratch_store_b64 off, v[134:135], off offset:1900
	;; [unrolled: 1-line block ×4, first 2 shown]
	.loc	1 171 16                        ; attention_bwd.py:171:16
	v_xor_b32_e32 v0, v5, v0
	v_lshlrev_b32_e32 v5, 4, v136
	v_lshlrev_b32_e32 v6, 6, v138
.Ltmp15:
	.loc	1 42 19                         ; attention_bwd.py:42:19 @[ attention_bwd.py:184:50 ]
	s_clause 0x5                            ; 48-byte Folded Spill
	scratch_store_b64 off, v[182:183], off offset:1884
	scratch_store_b64 off, v[21:22], off offset:1828
	;; [unrolled: 1-line block ×6, first 2 shown]
.Ltmp16:
	.loc	1 171 16                        ; attention_bwd.py:171:16
	v_and_b32_e32 v5, 0x70, v5
	s_clause 0x3                            ; 32-byte Folded Spill
	scratch_store_b64 off, v[199:200], off offset:2028
	scratch_store_b64 off, v[225:226], off offset:2132
	;; [unrolled: 1-line block ×4, first 2 shown]
	v_or3_b32 v89, v6, v5, v7
	v_dual_mov_b32 v5, v155 :: v_dual_mov_b32 v6, s2
	s_clause 0x5                            ; 44-byte Folded Spill
	scratch_store_b32 off, v7, off
	scratch_store_b64 off, v[203:204], off offset:2044
	scratch_store_b64 off, v[229:230], off offset:2148
	;; [unrolled: 1-line block ×5, first 2 shown]
.Ltmp17:
	.loc	1 51 24                         ; attention_bwd.py:51:24 @[ attention_bwd.py:184:50 ]
	v_lshlrev_b64 v[9:10], 2, v[5:6]
	s_clause 0x6                            ; 56-byte Folded Spill
	scratch_store_b64 off, v[5:6], off offset:1636
	scratch_store_b64 off, v[213:214], off offset:1948
	;; [unrolled: 1-line block ×7, first 2 shown]
	v_add_co_u32 v7, s2, s45, v9
	s_delay_alu instid0(VALU_DEP_1) | instskip(SKIP_1) | instid1(VALU_DEP_1)
	v_add_co_ci_u32_e64 v8, null, s46, v10, s2
	.loc	1 64 25                         ; attention_bwd.py:64:25 @[ attention_bwd.py:184:50 ]
	v_add_co_u32 v5, s2, s43, v9
	v_add_co_ci_u32_e64 v6, null, s44, v10, s2
	.loc	1 47 25                         ; attention_bwd.py:47:25 @[ attention_bwd.py:184:50 ]
	v_add_co_u32 v155, s2, v9, s8
	s_delay_alu instid0(VALU_DEP_1) | instskip(SKIP_1) | instid1(VALU_DEP_1)
	v_add_co_ci_u32_e64 v184, null, s9, v10, s2
.Ltmp18:
	.loc	1 172 20                        ; attention_bwd.py:172:20
	v_add_co_u32 v9, s2, s15, v178
	v_add_co_ci_u32_e64 v10, null, s33, v179, s2
.Ltmp19:
	.loc	1 47 25                         ; attention_bwd.py:47:25 @[ attention_bwd.py:184:50 ]
	s_lshl_b64 s[8:9], s[0:1], 1
.Ltmp20:
	.loc	1 172 51                        ; attention_bwd.py:172:51
	v_add_co_u32 v90, s2, v9, v251
	s_delay_alu instid0(VALU_DEP_1) | instskip(SKIP_1) | instid1(VALU_DEP_1)
	v_add_co_ci_u32_e64 v91, null, v10, v252, s2
	.loc	1 172 20 is_stmt 0              ; attention_bwd.py:172:20
	v_add_co_u32 v9, s2, s15, v42
	v_add_co_ci_u32_e64 v10, null, s33, v43, s2
.Ltmp21:
	.loc	1 47 25 is_stmt 1               ; attention_bwd.py:47:25 @[ attention_bwd.py:184:50 ]
	s_add_u32 s1, s16, s8
.Ltmp22:
	.loc	1 172 51                        ; attention_bwd.py:172:51
	v_add_co_u32 v92, s2, v9, v251
	s_delay_alu instid0(VALU_DEP_1) | instskip(SKIP_1) | instid1(VALU_DEP_1)
	v_add_co_ci_u32_e64 v93, null, v10, v252, s2
	.loc	1 172 20 is_stmt 0              ; attention_bwd.py:172:20
	v_add_co_u32 v9, s2, s15, v58
	v_add_co_ci_u32_e64 v10, null, s33, v59, s2
.Ltmp23:
	.loc	1 47 25 is_stmt 1               ; attention_bwd.py:47:25 @[ attention_bwd.py:184:50 ]
	s_addc_u32 s59, s17, s9
.Ltmp24:
	.loc	1 172 51                        ; attention_bwd.py:172:51
	v_add_co_u32 v94, s2, v9, v251
	s_delay_alu instid0(VALU_DEP_1) | instskip(SKIP_1) | instid1(VALU_DEP_1)
	v_add_co_ci_u32_e64 v95, null, v10, v252, s2
	.loc	1 172 20 is_stmt 0              ; attention_bwd.py:172:20
	v_add_co_u32 v9, s2, s15, v71
	v_add_co_ci_u32_e64 v10, null, s33, v72, s2
	s_clause 0x2                            ; 24-byte Folded Spill
	scratch_store_b64 off, v[217:218], off offset:1964
	scratch_store_b64 off, v[245:246], off offset:2076
	scratch_store_b64 off, v[241:242], off offset:2180
	.loc	1 172 51                        ; attention_bwd.py:172:51
	v_add_co_u32 v96, s2, v9, v251
	s_delay_alu instid0(VALU_DEP_1) | instskip(SKIP_1) | instid1(VALU_DEP_1)
	v_add_co_ci_u32_e64 v97, null, v10, v252, s2
	.loc	1 172 20                        ; attention_bwd.py:172:20
	v_add_co_u32 v9, s2, s15, v132
	v_add_co_ci_u32_e64 v10, null, s33, v133, s2
	s_clause 0x2                            ; 24-byte Folded Spill
	scratch_store_b64 off, v[185:186], off offset:1972
	scratch_store_b64 off, v[247:248], off offset:2084
	scratch_store_b64 off, v[243:244], off offset:2188
	.loc	1 172 51                        ; attention_bwd.py:172:51
	v_add_co_u32 v98, s2, v9, v251
	s_delay_alu instid0(VALU_DEP_1) | instskip(SKIP_1) | instid1(VALU_DEP_1)
	v_add_co_ci_u32_e64 v99, null, v10, v252, s2
	.loc	1 172 20                        ; attention_bwd.py:172:20
	;; [unrolled: 11-line block ×7, first 2 shown]
	v_add_co_u32 v9, s2, s15, v2
	v_add_co_ci_u32_e64 v10, null, s33, v3, s2
	.loc	1 171 58 is_stmt 1              ; attention_bwd.py:171:58
	v_lshrrev_b32_e32 v2, 4, v156
	s_delay_alu instid0(VALU_DEP_3) | instskip(NEXT) | instid1(VALU_DEP_1)
	.loc	1 172 51                        ; attention_bwd.py:172:51
	v_add_co_u32 v110, s2, v9, v251
	v_add_co_ci_u32_e64 v111, null, v10, v252, s2
	.loc	1 172 20 is_stmt 0              ; attention_bwd.py:172:20
	v_add_co_u32 v9, s2, s15, v134
	s_delay_alu instid0(VALU_DEP_1) | instskip(SKIP_1) | instid1(VALU_DEP_3)
	v_add_co_ci_u32_e64 v10, null, s33, v135, s2
.Ltmp25:
	.loc	1 41 56 is_stmt 1               ; attention_bwd.py:41:56 @[ attention_bwd.py:184:50 ]
	v_or_b32_e32 v11, 56, v2
.Ltmp26:
	.loc	1 172 51                        ; attention_bwd.py:172:51
	v_add_co_u32 v112, s2, v9, v251
	s_delay_alu instid0(VALU_DEP_1) | instskip(SKIP_1) | instid1(VALU_DEP_1)
	v_add_co_ci_u32_e64 v113, null, v10, v252, s2
	.loc	1 172 20 is_stmt 0              ; attention_bwd.py:172:20
	v_add_co_u32 v9, s2, s15, v153
	v_add_co_ci_u32_e64 v10, null, s33, v154, s2
.Ltmp27:
	.loc	1 41 67 is_stmt 1               ; attention_bwd.py:41:67 @[ attention_bwd.py:184:50 ]
	v_mul_lo_u32 v11, s11, v11
	s_delay_alu instid0(VALU_DEP_3) | instskip(NEXT) | instid1(VALU_DEP_1)
.Ltmp28:
	.loc	1 172 51                        ; attention_bwd.py:172:51
	v_add_co_u32 v114, s2, v9, v251
	v_add_co_ci_u32_e64 v115, null, v10, v252, s2
	.loc	1 172 20 is_stmt 0              ; attention_bwd.py:172:20
	v_add_co_u32 v9, s2, s15, v170
	s_delay_alu instid0(VALU_DEP_1) | instskip(SKIP_1) | instid1(VALU_DEP_3)
	v_add_co_ci_u32_e64 v10, null, s33, v171, s2
.Ltmp29:
	.loc	1 41 49 is_stmt 1               ; attention_bwd.py:41:49 @[ attention_bwd.py:184:50 ]
	v_ashrrev_i32_e32 v12, 31, v11
.Ltmp30:
	.loc	1 172 51                        ; attention_bwd.py:172:51
	v_add_co_u32 v116, s2, v9, v251
	s_delay_alu instid0(VALU_DEP_1) | instskip(SKIP_1) | instid1(VALU_DEP_1)
	v_add_co_ci_u32_e64 v117, null, v10, v252, s2
	.loc	1 172 20 is_stmt 0              ; attention_bwd.py:172:20
	v_add_co_u32 v9, s2, s15, v172
	v_add_co_ci_u32_e64 v10, null, s33, v173, s2
	scratch_store_b32 off, v2, off offset:2560 ; 4-byte Folded Spill
	.loc	1 172 51                        ; attention_bwd.py:172:51
	v_add_co_u32 v118, s2, v9, v251
	s_delay_alu instid0(VALU_DEP_1) | instskip(SKIP_1) | instid1(VALU_DEP_1)
	v_add_co_ci_u32_e64 v119, null, v10, v252, s2
	.loc	1 172 20                        ; attention_bwd.py:172:20
	v_add_co_u32 v9, s2, s15, v174
	v_add_co_ci_u32_e64 v10, null, s33, v175, s2
.Ltmp31:
	.loc	1 41 49 is_stmt 1               ; attention_bwd.py:41:49 @[ attention_bwd.py:184:50 ]
	v_lshlrev_b64 v[143:144], 1, v[11:12]
	s_delay_alu instid0(VALU_DEP_3) | instskip(SKIP_1) | instid1(VALU_DEP_4)
.Ltmp32:
	.loc	1 172 51                        ; attention_bwd.py:172:51
	v_add_co_u32 v120, s2, v9, v251
.Ltmp33:
	.loc	1 41 67                         ; attention_bwd.py:41:67 @[ attention_bwd.py:184:50 ]
	v_mul_lo_u32 v9, s11, v2
.Ltmp34:
	.loc	1 172 51                        ; attention_bwd.py:172:51
	v_add_co_ci_u32_e64 v121, null, v10, v252, s2
	s_delay_alu instid0(VALU_DEP_2)
.Ltmp35:
	.loc	1 41 67                         ; attention_bwd.py:41:67 @[ attention_bwd.py:184:50 ]
	v_add_nc_u32_e32 v13, s54, v9
	.loc	1 41 49 is_stmt 0               ; attention_bwd.py:41:49 @[ attention_bwd.py:184:50 ]
	v_ashrrev_i32_e32 v10, 31, v9
	.loc	1 41 67                         ; attention_bwd.py:41:67 @[ attention_bwd.py:184:50 ]
	v_add_nc_u32_e32 v15, s52, v9
	v_add_nc_u32_e32 v17, s51, v9
	;; [unrolled: 1-line block ×3, first 2 shown]
	.loc	1 41 49                         ; attention_bwd.py:41:49 @[ attention_bwd.py:184:50 ]
	v_ashrrev_i32_e32 v14, 31, v13
	v_lshlrev_b64 v[2:3], 1, v[9:10]
	.loc	1 41 67                         ; attention_bwd.py:41:67 @[ attention_bwd.py:184:50 ]
	v_add_nc_u32_e32 v10, s56, v9
	.loc	1 41 49                         ; attention_bwd.py:41:49 @[ attention_bwd.py:184:50 ]
	v_ashrrev_i32_e32 v16, 31, v15
	v_ashrrev_i32_e32 v18, 31, v17
	v_lshlrev_b64 v[122:123], 1, v[13:14]
	.loc	1 41 67                         ; attention_bwd.py:41:67 @[ attention_bwd.py:184:50 ]
	v_add_nc_u32_e32 v14, s53, v9
	.loc	1 38 23 is_stmt 1               ; attention_bwd.py:38:23 @[ attention_bwd.py:184:50 ]
	v_or_b32_e32 v9, s14, v253
	.loc	1 41 49                         ; attention_bwd.py:41:49 @[ attention_bwd.py:184:50 ]
	v_ashrrev_i32_e32 v11, 31, v10
	v_ashrrev_i32_e32 v13, 31, v12
	v_lshlrev_b64 v[136:137], 1, v[15:16]
	v_ashrrev_i32_e32 v15, 31, v14
	.loc	1 41 36 is_stmt 0               ; attention_bwd.py:41:36 @[ attention_bwd.py:184:50 ]
	v_mul_lo_u32 v19, s10, v9
	.loc	1 41 49                         ; attention_bwd.py:41:49 @[ attention_bwd.py:184:50 ]
	v_lshlrev_b64 v[9:10], 1, v[10:11]
	s_clause 0x1                            ; 16-byte Folded Spill
	scratch_store_b64 off, v[2:3], off offset:1848
	scratch_store_b64 off, v[180:181], off offset:1876
	v_lshlrev_b64 v[180:181], 1, v[12:13]
	v_lshlrev_b64 v[237:238], 1, v[14:15]
	;; [unrolled: 1-line block ×3, first 2 shown]
	scratch_store_b64 off, v[9:10], off offset:1856 ; 8-byte Folded Spill
	.loc	1 41 18                         ; attention_bwd.py:41:18 @[ attention_bwd.py:184:50 ]
	v_ashrrev_i32_e32 v20, 31, v19
	.loc	1 41 49                         ; attention_bwd.py:41:49 @[ attention_bwd.py:184:50 ]
	scratch_store_b64 off, v[122:123], off offset:1840 ; 8-byte Folded Spill
	.loc	1 41 18                         ; attention_bwd.py:41:18 @[ attention_bwd.py:184:50 ]
	v_lshlrev_b64 v[130:131], 1, v[19:20]
	s_delay_alu instid0(VALU_DEP_1) | instskip(NEXT) | instid1(VALU_DEP_1)
	v_add_co_u32 v23, s2, s49, v130
	v_add_co_ci_u32_e64 v24, null, s50, v131, s2
	s_delay_alu instid0(VALU_DEP_2) | instskip(NEXT) | instid1(VALU_DEP_1)
	.loc	1 41 49                         ; attention_bwd.py:41:49 @[ attention_bwd.py:184:50 ]
	v_add_co_u32 v249, s2, v23, v2
	v_add_co_ci_u32_e64 v250, null, v24, v3, s2
	v_add_co_u32 v235, s2, v23, v9
	s_delay_alu instid0(VALU_DEP_1) | instskip(SKIP_1) | instid1(VALU_DEP_1)
	v_add_co_ci_u32_e64 v236, null, v24, v10, s2
	v_add_co_u32 v10, s2, v23, v180
	v_add_co_ci_u32_e64 v11, null, v24, v181, s2
	v_add_co_u32 v182, s2, v23, v122
	s_delay_alu instid0(VALU_DEP_1) | instskip(SKIP_1) | instid1(VALU_DEP_1)
	v_add_co_ci_u32_e64 v183, null, v24, v123, s2
	;; [unrolled: 5-line block ×4, first 2 shown]
	.loc	1 42 19 is_stmt 1               ; attention_bwd.py:42:19 @[ attention_bwd.py:184:50 ]
	v_add_co_u32 v122, s2, s47, v21
	v_add_co_ci_u32_e64 v123, null, s48, v22, s2
.Ltmp36:
	.loc	1 171 16                        ; attention_bwd.py:171:16
	scratch_load_b32 v24, off, off offset:292 ; 4-byte Folded Reload
.Ltmp37:
	.loc	1 42 50                         ; attention_bwd.py:42:50 @[ attention_bwd.py:184:50 ]
	v_add_co_u32 v22, s2, v122, v251
	s_delay_alu instid0(VALU_DEP_1) | instskip(SKIP_1) | instid1(VALU_DEP_1)
	v_add_co_ci_u32_e64 v23, null, v123, v252, s2
	.loc	1 42 19 is_stmt 0               ; attention_bwd.py:42:19 @[ attention_bwd.py:184:50 ]
	v_add_co_u32 v122, s2, s47, v42
	v_add_co_ci_u32_e64 v123, null, s48, v43, s2
	scratch_load_b64 v[42:43], off, off offset:1716 ; 8-byte Folded Reload
	.loc	1 42 50                         ; attention_bwd.py:42:50 @[ attention_bwd.py:184:50 ]
	v_add_co_u32 v2, s2, v122, v251
	s_delay_alu instid0(VALU_DEP_1) | instskip(SKIP_1) | instid1(VALU_DEP_1)
	v_add_co_ci_u32_e64 v3, null, v123, v252, s2
	.loc	1 42 19                         ; attention_bwd.py:42:19 @[ attention_bwd.py:184:50 ]
	v_add_co_u32 v122, s2, s47, v58
	v_add_co_ci_u32_e64 v123, null, s48, v59, s2
	v_xor_b32_e32 v59, 32, v0
	s_delay_alu instid0(VALU_DEP_3) | instskip(NEXT) | instid1(VALU_DEP_1)
	.loc	1 42 50                         ; attention_bwd.py:42:50 @[ attention_bwd.py:184:50 ]
	v_add_co_u32 v139, s2, v122, v251
	v_add_co_ci_u32_e64 v140, null, v123, v252, s2
	.loc	1 42 19                         ; attention_bwd.py:42:19 @[ attention_bwd.py:184:50 ]
	v_add_co_u32 v122, s2, s47, v71
	s_delay_alu instid0(VALU_DEP_1) | instskip(NEXT) | instid1(VALU_DEP_2)
	v_add_co_ci_u32_e64 v123, null, s48, v72, s2
	.loc	1 42 50                         ; attention_bwd.py:42:50 @[ attention_bwd.py:184:50 ]
	v_add_co_u32 v141, s2, v122, v251
	s_delay_alu instid0(VALU_DEP_1) | instskip(SKIP_1) | instid1(VALU_DEP_1)
	v_add_co_ci_u32_e64 v142, null, v123, v252, s2
	.loc	1 42 19                         ; attention_bwd.py:42:19 @[ attention_bwd.py:184:50 ]
	v_add_co_u32 v122, s2, s47, v132
	v_add_co_ci_u32_e64 v123, null, s48, v133, s2
	s_delay_alu instid0(VALU_DEP_2) | instskip(NEXT) | instid1(VALU_DEP_1)
	.loc	1 42 50                         ; attention_bwd.py:42:50 @[ attention_bwd.py:184:50 ]
	v_add_co_u32 v20, s2, v122, v251
	v_add_co_ci_u32_e64 v21, null, v123, v252, s2
	.loc	1 42 19                         ; attention_bwd.py:42:19 @[ attention_bwd.py:184:50 ]
	v_add_co_u32 v122, s2, s47, v164
	s_delay_alu instid0(VALU_DEP_1) | instskip(NEXT) | instid1(VALU_DEP_2)
	v_add_co_ci_u32_e64 v123, null, s48, v165, s2
	.loc	1 42 50                         ; attention_bwd.py:42:50 @[ attention_bwd.py:184:50 ]
	v_add_co_u32 v18, s2, v122, v251
	s_delay_alu instid0(VALU_DEP_1) | instskip(SKIP_1) | instid1(VALU_DEP_1)
	v_add_co_ci_u32_e64 v19, null, v123, v252, s2
	.loc	1 42 19                         ; attention_bwd.py:42:19 @[ attention_bwd.py:184:50 ]
	v_add_co_u32 v122, s2, s47, v166
	v_add_co_ci_u32_e64 v123, null, s48, v167, s2
	s_delay_alu instid0(VALU_DEP_2) | instskip(NEXT) | instid1(VALU_DEP_1)
	.loc	1 42 50                         ; attention_bwd.py:42:50 @[ attention_bwd.py:184:50 ]
	v_add_co_u32 v16, s2, v122, v251
	v_add_co_ci_u32_e64 v17, null, v123, v252, s2
	.loc	1 42 19                         ; attention_bwd.py:42:19 @[ attention_bwd.py:184:50 ]
	v_add_co_u32 v122, s2, s47, v162
	s_delay_alu instid0(VALU_DEP_1) | instskip(NEXT) | instid1(VALU_DEP_2)
	v_add_co_ci_u32_e64 v123, null, s48, v163, s2
	.loc	1 42 50                         ; attention_bwd.py:42:50 @[ attention_bwd.py:184:50 ]
	v_add_co_u32 v132, s2, v122, v251
	.loc	1 47 25 is_stmt 1               ; attention_bwd.py:47:25 @[ attention_bwd.py:184:50 ]
	v_or_b32_e32 v122, 14, v168
	s_delay_alu instid0(VALU_DEP_3) | instskip(NEXT) | instid1(VALU_DEP_2)
	.loc	1 42 50                         ; attention_bwd.py:42:50 @[ attention_bwd.py:184:50 ]
	v_add_co_ci_u32_e64 v133, null, v123, v252, s2
	.loc	1 47 25                         ; attention_bwd.py:47:25 @[ attention_bwd.py:184:50 ]
	v_mul_lo_u32 v122, s10, v122
	s_delay_alu instid0(VALU_DEP_1) | instskip(NEXT) | instid1(VALU_DEP_1)
	v_ashrrev_i32_e32 v123, 31, v122
	v_lshlrev_b64 v[122:123], 1, v[122:123]
	s_delay_alu instid0(VALU_DEP_1)
	v_add_co_u32 v9, s2, v122, v251
	v_or_b32_e32 v122, 12, v168
	s_clause 0x1                            ; 12-byte Folded Spill
	scratch_store_b64 off, v[170:171], off offset:1916
	scratch_store_b32 off, v9, off offset:652
	v_add_co_ci_u32_e64 v9, null, v123, v252, s2
	v_mul_lo_u32 v122, s10, v122
	s_clause 0x1                            ; 12-byte Folded Spill
	scratch_store_b64 off, v[172:173], off offset:1924
	scratch_store_b32 off, v9, off offset:684
	v_ashrrev_i32_e32 v123, 31, v122
	s_delay_alu instid0(VALU_DEP_1) | instskip(NEXT) | instid1(VALU_DEP_1)
	v_lshlrev_b64 v[122:123], 1, v[122:123]
	v_add_co_u32 v9, s2, v122, v251
	v_or_b32_e32 v122, 10, v168
	s_clause 0x1                            ; 12-byte Folded Spill
	scratch_store_b64 off, v[174:175], off offset:1932
	scratch_store_b32 off, v9, off offset:716
	v_add_co_ci_u32_e64 v9, null, v123, v252, s2
	v_mul_lo_u32 v122, s10, v122
	scratch_store_b32 off, v9, off offset:748 ; 4-byte Folded Spill
	v_ashrrev_i32_e32 v123, 31, v122
	s_delay_alu instid0(VALU_DEP_1) | instskip(NEXT) | instid1(VALU_DEP_1)
	v_lshlrev_b64 v[122:123], 1, v[122:123]
	v_add_co_u32 v9, s2, v122, v251
	v_or_b32_e32 v122, 8, v168
	scratch_store_b32 off, v9, off offset:780 ; 4-byte Folded Spill
	v_add_co_ci_u32_e64 v9, null, v123, v252, s2
	v_mul_lo_u32 v122, s10, v122
	scratch_store_b32 off, v9, off offset:788 ; 4-byte Folded Spill
	v_ashrrev_i32_e32 v123, 31, v122
	s_delay_alu instid0(VALU_DEP_1) | instskip(NEXT) | instid1(VALU_DEP_1)
	v_lshlrev_b64 v[122:123], 1, v[122:123]
	v_add_co_u32 v9, s2, v122, v251
	v_or_b32_e32 v122, 6, v168
	scratch_store_b32 off, v9, off offset:796 ; 4-byte Folded Spill
	;; [unrolled: 9-line block ×4, first 2 shown]
	v_add_co_ci_u32_e64 v9, null, v123, v252, s2
	v_mul_lo_u32 v122, s10, v122
	s_clause 0x1                            ; 8-byte Folded Spill
	scratch_store_b32 off, v9, off offset:904
	scratch_store_b32 off, v168, off offset:972
	v_ashrrev_i32_e32 v123, 31, v122
	s_delay_alu instid0(VALU_DEP_1) | instskip(NEXT) | instid1(VALU_DEP_1)
	v_lshlrev_b64 v[122:123], 1, v[122:123]
	v_add_co_u32 v9, s2, v122, v251
	scratch_store_b32 off, v9, off offset:936 ; 4-byte Folded Spill
	v_add_co_ci_u32_e64 v9, null, v123, v252, s2
	scratch_store_b32 off, v9, off offset:968 ; 4-byte Folded Spill
.Ltmp38:
	.loc	1 171 16                        ; attention_bwd.py:171:16
	v_add_nc_u32_e32 v9, 0, v0
	ds_store_b16 v9, v33
	ds_store_b16 v9, v62 offset:1024
	ds_store_b16 v9, v65 offset:2048
	;; [unrolled: 1-line block ×4, first 2 shown]
	s_waitcnt vmcnt(45)
	ds_store_b16 v9, v73 offset:5120
	s_waitcnt vmcnt(41)
	ds_store_b16 v9, v75 offset:6144
	;; [unrolled: 2-line block ×11, first 2 shown]
	v_add_nc_u32_e32 v4, 0, v59
	v_xor_b32_e32 v88, 16, v89
	.loc	1 172 20                        ; attention_bwd.py:172:20
	s_waitcnt vmcnt(0)
	v_add_co_u32 v122, s2, s15, v42
	s_delay_alu instid0(VALU_DEP_1) | instskip(SKIP_2) | instid1(VALU_DEP_1)
	v_add_co_ci_u32_e64 v123, null, s33, v43, s2
	scratch_load_b64 v[42:43], off, off offset:1724 ; 8-byte Folded Reload
	.loc	1 172 51 is_stmt 0              ; attention_bwd.py:172:51
	v_add_co_u32 v122, s2, v122, v251
	v_add_co_ci_u32_e64 v123, null, v123, v252, s2
	.loc	1 172 20                        ; attention_bwd.py:172:20
	s_waitcnt vmcnt(0)
	v_add_co_u32 v124, s2, s15, v42
	s_delay_alu instid0(VALU_DEP_1) | instskip(SKIP_2) | instid1(VALU_DEP_1)
	v_add_co_ci_u32_e64 v125, null, s33, v43, s2
	scratch_load_b64 v[42:43], off, off offset:1732 ; 8-byte Folded Reload
	.loc	1 172 51                        ; attention_bwd.py:172:51
	v_add_co_u32 v124, s2, v124, v251
	v_add_co_ci_u32_e64 v125, null, v125, v252, s2
	.loc	1 172 20                        ; attention_bwd.py:172:20
	s_waitcnt vmcnt(0)
	v_add_co_u32 v126, s2, s15, v42
	s_delay_alu instid0(VALU_DEP_1) | instskip(SKIP_2) | instid1(VALU_DEP_1)
	v_add_co_ci_u32_e64 v127, null, s33, v43, s2
	scratch_load_b64 v[42:43], off, off offset:1740 ; 8-byte Folded Reload
	.loc	1 172 51                        ; attention_bwd.py:172:51
	;; [unrolled: 9-line block ×12, first 2 shown]
	v_add_co_u32 v165, s2, v165, v251
	v_add_co_ci_u32_e64 v166, null, v166, v252, s2
	.loc	1 172 20                        ; attention_bwd.py:172:20
	s_waitcnt vmcnt(0)
	v_add_co_u32 v167, s2, s15, v42
	s_delay_alu instid0(VALU_DEP_1) | instskip(SKIP_1) | instid1(VALU_DEP_3)
	v_add_co_ci_u32_e64 v168, null, s33, v43, s2
	v_xor_b32_e32 v43, 64, v0
	.loc	1 172 51                        ; attention_bwd.py:172:51
	v_add_co_u32 v167, s2, v167, v251
	s_delay_alu instid0(VALU_DEP_1) | instskip(SKIP_1) | instid1(VALU_DEP_1)
	v_add_co_ci_u32_e64 v168, null, v168, v252, s2
	.loc	1 172 20                        ; attention_bwd.py:172:20
	v_add_co_u32 v169, s2, s15, v211
	v_add_co_ci_u32_e64 v170, null, s33, v212, s2
	v_xor_b32_e32 v0, 0x60, v0
	s_delay_alu instid0(VALU_DEP_3) | instskip(NEXT) | instid1(VALU_DEP_1)
	.loc	1 172 51                        ; attention_bwd.py:172:51
	v_add_co_u32 v169, s2, v169, v251
	v_add_co_ci_u32_e64 v170, null, v170, v252, s2
	.loc	1 172 20                        ; attention_bwd.py:172:20
	v_add_co_u32 v171, s2, s15, v213
	s_delay_alu instid0(VALU_DEP_1) | instskip(NEXT) | instid1(VALU_DEP_2)
	v_add_co_ci_u32_e64 v172, null, s33, v214, s2
	.loc	1 172 51                        ; attention_bwd.py:172:51
	v_add_co_u32 v171, s2, v171, v251
	s_delay_alu instid0(VALU_DEP_1) | instskip(SKIP_1) | instid1(VALU_DEP_1)
	v_add_co_ci_u32_e64 v172, null, v172, v252, s2
	.loc	1 172 20                        ; attention_bwd.py:172:20
	v_add_co_u32 v173, s2, s15, v176
	v_add_co_ci_u32_e64 v174, null, s33, v177, s2
	s_delay_alu instid0(VALU_DEP_2) | instskip(NEXT) | instid1(VALU_DEP_1)
	.loc	1 172 51                        ; attention_bwd.py:172:51
	v_add_co_u32 v173, s2, v173, v251
	v_add_co_ci_u32_e64 v174, null, v174, v252, s2
	.loc	1 172 20                        ; attention_bwd.py:172:20
	v_add_co_u32 v175, s2, s15, v217
	s_delay_alu instid0(VALU_DEP_1) | instskip(NEXT) | instid1(VALU_DEP_2)
	v_add_co_ci_u32_e64 v176, null, s33, v218, s2
	.loc	1 172 51                        ; attention_bwd.py:172:51
	v_add_co_u32 v175, s2, v175, v251
	s_delay_alu instid0(VALU_DEP_1) | instskip(SKIP_1) | instid1(VALU_DEP_1)
	v_add_co_ci_u32_e64 v176, null, v176, v252, s2
	.loc	1 172 20                        ; attention_bwd.py:172:20
	v_add_co_u32 v177, s2, s15, v185
	v_add_co_ci_u32_e64 v186, null, s33, v186, s2
	s_delay_alu instid0(VALU_DEP_2) | instskip(NEXT) | instid1(VALU_DEP_1)
	;; [unrolled: 15-line block ×16, first 2 shown]
	.loc	1 172 51                        ; attention_bwd.py:172:51
	v_add_co_u32 v245, s2, v177, v251
	v_add_co_ci_u32_e64 v246, null, v246, v252, s2
	.loc	1 172 20                        ; attention_bwd.py:172:20
	v_add_co_u32 v177, s2, s15, v25
	.loc	1 171 16 is_stmt 1              ; attention_bwd.py:171:16
	scratch_load_b32 v25, off, off offset:196 ; 4-byte Folded Reload
	ds_store_b16 v4, v24 offset:256
	ds_store_b16 v4, v46 offset:1280
	;; [unrolled: 1-line block ×16, first 2 shown]
	v_add_nc_u32_e32 v24, 0, v43
	.loc	1 172 20                        ; attention_bwd.py:172:20
	v_add_co_ci_u32_e64 v248, null, s33, v26, s2
	.loc	1 172 51 is_stmt 0              ; attention_bwd.py:172:51
	v_add_co_u32 v247, s2, v177, v251
	s_delay_alu instid0(VALU_DEP_1)
	v_add_co_ci_u32_e64 v248, null, v248, v252, s2
	s_mov_b64 s[2:3], 0
	.loc	1 171 16 is_stmt 1              ; attention_bwd.py:171:16
	s_waitcnt vmcnt(0)
	ds_store_b16 v24, v25 offset:512
	scratch_load_b32 v25, off, off offset:260 ; 4-byte Folded Reload
	s_waitcnt vmcnt(0)
	ds_store_b16 v24, v25 offset:1536
	ds_store_b16 v24, v35 offset:2560
	;; [unrolled: 1-line block ×15, first 2 shown]
	v_add_nc_u32_e32 v1, 0, v0
	scratch_load_b32 v0, off, off offset:36 ; 4-byte Folded Reload
	s_waitcnt vmcnt(0)
	ds_store_b16 v1, v0 offset:768
	scratch_load_b32 v0, off, off offset:68 ; 4-byte Folded Reload
	s_waitcnt vmcnt(0)
	ds_store_b16 v1, v0 offset:1792
	;; [unrolled: 3-line block ×5, first 2 shown]
	ds_store_b16 v1, v30 offset:5888
	ds_store_b16 v1, v28 offset:6912
	;; [unrolled: 1-line block ×11, first 2 shown]
	s_waitcnt lgkmcnt(0)
	s_waitcnt_vscnt null, 0x0
	s_barrier
	buffer_gl0_inv
	.loc	1 172 16                        ; attention_bwd.py:172:16
	s_clause 0x1f
	global_load_u16 v0, v[90:91], off
	global_load_u16 v25, v[92:93], off
	global_load_u16 v26, v[94:95], off
	global_load_u16 v27, v[96:97], off
	global_load_u16 v28, v[98:99], off
	global_load_u16 v29, v[100:101], off
	global_load_u16 v30, v[102:103], off
	global_load_u16 v31, v[104:105], off
	global_load_u16 v32, v[106:107], off
	global_load_u16 v33, v[114:115], off
	global_load_u16 v34, v[108:109], off
	global_load_u16 v35, v[116:117], off
	global_load_u16 v36, v[110:111], off
	global_load_u16 v37, v[118:119], off
	global_load_u16 v38, v[120:121], off
	global_load_u16 v39, v[112:113], off
	global_load_u16 v40, v[122:123], off
	global_load_u16 v41, v[145:146], off
	global_load_u16 v42, v[124:125], off
	global_load_u16 v43, v[147:148], off
	global_load_u16 v44, v[126:127], off
	global_load_u16 v45, v[149:150], off
	global_load_u16 v46, v[151:152], off
	global_load_u16 v47, v[128:129], off
	global_load_u16 v48, v[157:158], off
	global_load_u16 v49, v[165:166], off
	global_load_u16 v50, v[159:160], off
	global_load_u16 v51, v[167:168], off
	global_load_u16 v52, v[161:162], off
	global_load_u16 v53, v[169:170], off
	global_load_u16 v54, v[171:172], off
	global_load_u16 v55, v[163:164], off
	s_clause 0x1f
	global_load_u16 v56, v[173:174], off
	global_load_u16 v57, v[189:190], off
	;; [unrolled: 1-line block ×32, first 2 shown]
	.loc	1 171 16                        ; attention_bwd.py:171:16
	v_add_nc_u32_e32 v98, 0, v88
	v_add_nc_u32_e32 v95, 0, v89
	ds_load_b128 v[103:106], v98
	ds_load_b128 v[99:102], v95
	s_waitcnt lgkmcnt(0)
	s_clause 0x1                            ; 32-byte Folded Spill
	scratch_store_b128 off, v[99:102], off offset:164
	scratch_store_b128 off, v[103:106], off offset:180
	ds_load_b128 v[99:102], v95 offset:8192
	ds_load_b128 v[103:106], v98 offset:8192
	v_xor_b32_e32 v91, 48, v89
	v_xor_b32_e32 v90, 32, v89
	s_waitcnt lgkmcnt(1)
	scratch_store_b128 off, v[99:102], off offset:196 ; 16-byte Folded Spill
	s_waitcnt lgkmcnt(0)
	scratch_store_b128 off, v[103:106], off offset:212 ; 16-byte Folded Spill
	v_add_nc_u32_e32 v97, 0, v91
	v_add_nc_u32_e32 v96, 0, v90
	ds_load_b128 v[103:106], v97
	ds_load_b128 v[99:102], v96
	s_waitcnt lgkmcnt(0)
	s_clause 0x1                            ; 32-byte Folded Spill
	scratch_store_b128 off, v[99:102], off offset:132
	scratch_store_b128 off, v[103:106], off offset:148
	ds_load_b128 v[99:102], v96 offset:8192
	ds_load_b128 v[103:106], v97 offset:8192
	v_xor_b32_e32 v93, 0x50, v89
	v_xor_b32_e32 v92, 64, v89
	s_waitcnt lgkmcnt(1)
	scratch_store_b128 off, v[99:102], off offset:100 ; 16-byte Folded Spill
	s_waitcnt lgkmcnt(0)
	scratch_store_b128 off, v[103:106], off offset:116 ; 16-byte Folded Spill
	v_add_nc_u32_e32 v91, 0, v93
	v_add_nc_u32_e32 v90, 0, v92
	ds_load_b128 v[103:106], v91
	ds_load_b128 v[99:102], v90
	s_waitcnt lgkmcnt(0)
	s_clause 0x1                            ; 32-byte Folded Spill
	scratch_store_b128 off, v[99:102], off offset:68
	scratch_store_b128 off, v[103:106], off offset:84
	ds_load_b128 v[99:102], v90 offset:8192
	ds_load_b128 v[103:106], v91 offset:8192
	v_xor_b32_e32 v94, 0x60, v89
	v_xor_b32_e32 v89, 0x70, v89
	s_waitcnt lgkmcnt(1)
	scratch_store_b128 off, v[99:102], off offset:36 ; 16-byte Folded Spill
	s_waitcnt lgkmcnt(0)
	scratch_store_b128 off, v[103:106], off offset:52 ; 16-byte Folded Spill
	v_add_nc_u32_e32 v89, 0, v89
	v_add_nc_u32_e32 v88, 0, v94
	ds_load_b128 v[103:106], v89
	ds_load_b128 v[99:102], v88
	s_waitcnt lgkmcnt(0)
	s_clause 0x1                            ; 32-byte Folded Spill
	scratch_store_b128 off, v[99:102], off offset:452
	scratch_store_b128 off, v[103:106], off offset:468
	ds_load_b128 v[99:102], v88 offset:8192
	ds_load_b128 v[103:106], v89 offset:8192
	s_waitcnt lgkmcnt(1)
	scratch_store_b128 off, v[99:102], off offset:420 ; 16-byte Folded Spill
	s_waitcnt lgkmcnt(0)
	scratch_store_b128 off, v[103:106], off offset:436 ; 16-byte Folded Spill
	.loc	1 172 16                        ; attention_bwd.py:172:16
	s_waitcnt vmcnt(0)
	s_waitcnt_vscnt null, 0x0
	s_barrier
	buffer_gl0_inv
	ds_store_b16 v9, v0
	ds_store_b16 v9, v28 offset:1024
	ds_store_b16 v9, v32 offset:2048
	;; [unrolled: 1-line block ×14, first 2 shown]
.Ltmp39:
	.loc	1 51 24                         ; attention_bwd.py:51:24 @[ attention_bwd.py:184:50 ]
	v_mov_b32_e32 v65, 0
	s_delay_alu instid0(VALU_DEP_1)
	v_mov_b32_e32 v57, v65
.Ltmp40:
	.loc	1 172 16                        ; attention_bwd.py:172:16
	ds_store_b16 v9, v81 offset:15360
	ds_store_b16 v4, v25 offset:256
	;; [unrolled: 1-line block ×16, first 2 shown]
	v_mov_b32_e32 v59, v65
	scratch_store_b32 off, v4, off offset:2392 ; 4-byte Folded Spill
	ds_store_b16 v4, v83 offset:15616
	ds_store_b16 v24, v26 offset:512
	;; [unrolled: 1-line block ×32, first 2 shown]
	v_mov_b32_e32 v60, v65
	scratch_store_b32 off, v9, off offset:2388 ; 4-byte Folded Spill
	v_mov_b32_e32 v62, v65
	s_clause 0x1                            ; 8-byte Folded Spill
	scratch_store_b32 off, v24, off offset:2396
	scratch_store_b32 off, v1, off offset:2400
	ds_store_b16 v1, v86 offset:16128
	s_waitcnt lgkmcnt(0)
	s_waitcnt_vscnt null, 0x0
	s_barrier
	buffer_gl0_inv
.Ltmp41:
	.loc	1 48 21                         ; attention_bwd.py:48:21 @[ attention_bwd.py:184:50 ]
	s_clause 0x7
	global_load_u16 v0, v[249:250], off
	global_load_u16 v9, v[235:236], off
	;; [unrolled: 1-line block ×8, first 2 shown]
	.loc	1 51 20                         ; attention_bwd.py:51:20 @[ attention_bwd.py:184:50 ]
	scratch_load_b64 v[24:25], off, off offset:4 ; 8-byte Folded Reload
	s_waitcnt vmcnt(0)
	s_clause 0x7
	global_load_b32 v209, v[24:25], off
	global_load_b32 v208, v[7:8], off offset:8
	global_load_b32 v207, v[7:8], off offset:16
	;; [unrolled: 1-line block ×7, first 2 shown]
	.loc	1 64 21                         ; attention_bwd.py:64:21 @[ attention_bwd.py:184:50 ]
	scratch_load_b64 v[7:8], off, off offset:228 ; 8-byte Folded Reload
	v_mov_b32_e32 v61, v65
	v_mov_b32_e32 v64, v65
.Ltmp42:
	.loc	1 172 16                        ; attention_bwd.py:172:16
	ds_load_b128 v[28:31], v98
	ds_load_b128 v[24:27], v95
.Ltmp43:
	.loc	1 64 21                         ; attention_bwd.py:64:21 @[ attention_bwd.py:184:50 ]
	s_waitcnt vmcnt(0)
	s_clause 0x7
	global_load_b32 v164, v[7:8], off
	global_load_b32 v163, v[5:6], off offset:8
	global_load_b32 v162, v[5:6], off offset:16
	;; [unrolled: 1-line block ×7, first 2 shown]
	s_waitcnt lgkmcnt(0)
	s_clause 0x2                            ; 36-byte Folded Spill
	scratch_store_b128 off, v[24:27], off offset:356
	scratch_store_b128 off, v[28:31], off offset:372
	scratch_store_b32 off, v95, off offset:2436
.Ltmp44:
	.loc	1 172 16                        ; attention_bwd.py:172:16
	ds_load_b128 v[24:27], v95 offset:8192
	ds_load_b128 v[28:31], v98 offset:8192
	s_waitcnt lgkmcnt(1)
	scratch_store_b128 off, v[24:27], off offset:388 ; 16-byte Folded Spill
	s_waitcnt lgkmcnt(0)
	scratch_store_b128 off, v[28:31], off offset:404 ; 16-byte Folded Spill
	v_mov_b32_e32 v63, v65
	v_mov_b32_e32 v82, v65
	ds_load_b128 v[28:31], v97
	ds_load_b128 v[24:27], v96
	s_waitcnt lgkmcnt(0)
	s_clause 0x2                            ; 36-byte Folded Spill
	scratch_store_b128 off, v[24:27], off offset:292
	scratch_store_b128 off, v[28:31], off offset:308
	scratch_store_b32 off, v96, off offset:2468
	ds_load_b128 v[24:27], v96 offset:8192
	ds_load_b128 v[28:31], v97 offset:8192
	s_waitcnt lgkmcnt(1)
	scratch_store_b128 off, v[24:27], off offset:324 ; 16-byte Folded Spill
	s_waitcnt lgkmcnt(0)
	scratch_store_b128 off, v[28:31], off offset:340 ; 16-byte Folded Spill
	v_mov_b32_e32 v81, v65
	v_mov_b32_e32 v84, v65
	ds_load_b128 v[28:31], v91
	ds_load_b128 v[24:27], v90
	s_waitcnt lgkmcnt(0)
	s_clause 0x2                            ; 36-byte Folded Spill
	scratch_store_b128 off, v[24:27], off offset:228
	scratch_store_b128 off, v[28:31], off offset:244
	scratch_store_b32 off, v90, off offset:2440
	ds_load_b128 v[24:27], v90 offset:8192
	ds_load_b128 v[28:31], v91 offset:8192
.Ltmp45:
	.loc	1 58 21                         ; attention_bwd.py:58:21 @[ attention_bwd.py:184:50 ]
	s_clause 0x5
	global_load_u16 v1, v[22:23], off
	global_load_u16 v4, v[141:142], off
	;; [unrolled: 1-line block ×6, first 2 shown]
	s_clause 0x3                            ; 32-byte Folded Spill
	scratch_store_b64 off, v[139:140], off offset:2332
	scratch_store_b64 off, v[2:3], off offset:2348
	;; [unrolled: 1-line block ×4, first 2 shown]
	s_clause 0x1
	global_load_u16 v2, v[2:3], off
	global_load_u16 v3, v[139:140], off
	v_mov_b32_e32 v83, v65
.Ltmp46:
	.loc	1 172 16                        ; attention_bwd.py:172:16
	ds_load_b128 v[226:229], v88 offset:8192
	v_mov_b32_e32 v86, v65
	ds_load_b128 v[245:248], v89
	ds_load_b128 v[241:244], v88
	ds_load_b128 v[230:233], v89 offset:8192
	s_clause 0x3                            ; 32-byte Folded Spill
	scratch_store_b64 off, v[22:23], off offset:2364
	scratch_store_b64 off, v[16:17], off offset:2356
	;; [unrolled: 1-line block ×4, first 2 shown]
	v_dual_mov_b32 v85, v65 :: v_dual_lshlrev_b32 v16, 1, v156
	s_waitcnt lgkmcnt(5)
	scratch_store_b128 off, v[24:27], off offset:260 ; 16-byte Folded Spill
	s_waitcnt lgkmcnt(4)
	s_clause 0x5                            ; 36-byte Folded Spill
	scratch_store_b128 off, v[28:31], off offset:276
	scratch_store_b32 off, v88, off offset:2420
	scratch_store_b32 off, v98, off offset:2500
	;; [unrolled: 1-line block ×5, first 2 shown]
	v_dual_mov_b32 v88, v65 :: v_dual_add_nc_u32 v255, 0, v16
	v_mov_b32_e32 v90, v65
	v_mov_b32_e32 v68, v65
	;; [unrolled: 1-line block ×3, first 2 shown]
	v_dual_mov_b32 v96, v65 :: v_dual_lshlrev_b32 v141, 5, v253
	v_dual_mov_b32 v93, v65 :: v_dual_lshlrev_b32 v140, 1, v253
	v_mov_b32_e32 v66, v65
	v_mov_b32_e32 v67, v65
	;; [unrolled: 1-line block ×7, first 2 shown]
	v_dual_mov_b32 v97, v65 :: v_dual_add_nc_u32 v240, 0, v140
	v_mov_b32_e32 v99, v65
	v_mov_b32_e32 v100, v65
	;; [unrolled: 1-line block ×78, first 2 shown]
.Ltmp47:
	.loc	1 48 21                         ; attention_bwd.py:48:21 @[ attention_bwd.py:184:50 ]
	s_waitcnt vmcnt(0) lgkmcnt(0)
	s_waitcnt_vscnt null, 0x0
	s_barrier
	buffer_gl0_inv
	ds_store_b16 v255, v0
	ds_store_b16 v255, v9 offset:256
	ds_store_b16 v255, v10 offset:512
	;; [unrolled: 1-line block ×7, first 2 shown]
	.loc	1 58 21                         ; attention_bwd.py:58:21 @[ attention_bwd.py:184:50 ]
	ds_store_b16 v255, v1 offset:2048
	ds_store_b16 v255, v2 offset:2304
	;; [unrolled: 1-line block ×8, first 2 shown]
	v_mov_b32_e32 v0, v65
	v_mov_b32_e32 v1, v65
	;; [unrolled: 1-line block ×8, first 2 shown]
	s_clause 0x1                            ; 32-byte Folded Spill
	scratch_store_b128 off, v[0:3], off offset:4
	scratch_store_b128 off, v[4:7], off offset:20
	v_dual_mov_b32 v1, 0x7632 :: v_dual_mov_b32 v92, v65
.Ltmp48:
	.loc	1 165 36                        ; attention_bwd.py:165:36
	v_lshrrev_b32_e32 v2, 1, v138
	scratch_load_b64 v[105:106], off, off offset:1840 ; 8-byte Folded Reload
	v_mov_b32_e32 v0, 0x5410
	v_cndmask_b32_e32 v1, 0x3276, v1, vcc_lo
	v_mov_b32_e32 v89, v65
	.loc	1 165 23 is_stmt 0              ; attention_bwd.py:165:23
	v_or3_b32 v239, v2, v253, s14
	s_clause 0x3                            ; 28-byte Folded Spill
	scratch_store_b64 off, v[237:238], off offset:2524
	scratch_store_b64 off, v[180:181], off offset:2532
	scratch_store_b32 off, v16, off offset:2548
	scratch_store_b64 off, v[130:131], off offset:2540
	v_lshl_or_b32 v1, v1, 8, v1
	v_mov_b32_e32 v94, v65
	v_dual_cndmask_b32 v0, 0x1054, v0 :: v_dual_mov_b32 v9, v65
	s_delay_alu instid0(VALU_DEP_3) | instskip(SKIP_1) | instid1(VALU_DEP_3)
	v_dual_mov_b32 v10, v65 :: v_dual_and_b32 v1, 0x760076, v1
	v_mov_b32_e32 v11, v65
	v_lshl_or_b32 v0, v0, 8, v0
	v_mov_b32_e32 v91, v65
	v_mov_b32_e32 v12, v65
	v_lshl_or_b32 v1, v1, 4, v1
	s_delay_alu instid0(VALU_DEP_4) | instskip(SKIP_2) | instid1(VALU_DEP_4)
	v_dual_mov_b32 v95, v65 :: v_dual_and_b32 v0, 0x540054, v0
	v_mov_b32_e32 v13, v65
	v_mov_b32_e32 v14, v65
	v_and_b32_e32 v254, 0x7060706, v1
	scratch_load_b64 v[1:2], off, off offset:1828 ; 8-byte Folded Reload
	v_lshl_or_b32 v0, v0, 4, v0
	v_mov_b32_e32 v98, v65
	v_mov_b32_e32 v15, v65
	;; [unrolled: 1-line block ×3, first 2 shown]
	scratch_store_b32 off, v141, off offset:1620 ; 4-byte Folded Spill
	v_and_b32_e32 v129, 0x5040504, v0
.Ltmp49:
	.loc	1 47 25 is_stmt 1               ; attention_bwd.py:47:25 @[ attention_bwd.py:184:50 ]
	v_add_co_u32 v0, vcc_lo, s4, v155
	s_clause 0x6                            ; 76-byte Folded Spill
	scratch_store_b32 off, v156, off offset:1616
	scratch_store_b32 off, v140, off offset:2552
	scratch_store_b128 off, v[226:229], off offset:484
	scratch_store_b128 off, v[230:233], off offset:500
	scratch_store_b128 off, v[241:244], off offset:516
	scratch_store_b128 off, v[245:248], off offset:532
	scratch_store_b32 off, v0, off offset:548
	v_add_co_u32 v0, s0, s6, v155
	scratch_store_b32 off, v0, off offset:580 ; 4-byte Folded Spill
	v_add_co_ci_u32_e64 v0, null, s7, v184, s0
	s_clause 0x1                            ; 8-byte Folded Spill
	scratch_store_b32 off, v138, off offset:1836
	scratch_store_b32 off, v0, off offset:588
	v_add_co_ci_u32_e64 v0, null, s5, v184, vcc_lo
	scratch_store_b32 off, v0, off offset:620 ; 4-byte Folded Spill
	s_waitcnt vmcnt(0)
	v_add_co_u32 v0, vcc_lo, v1, v251
	s_delay_alu instid0(VALU_DEP_1) | instskip(NEXT) | instid1(VALU_DEP_2)
	v_add_co_ci_u32_e64 v1, null, v2, v252, vcc_lo
	v_add_co_u32 v169, vcc_lo, s1, v0
	s_delay_alu instid0(VALU_DEP_1) | instskip(SKIP_1) | instid1(VALU_DEP_1)
	v_add_co_ci_u32_e64 v170, null, s59, v1, vcc_lo
	v_add_co_u32 v0, vcc_lo, v143, v130
	v_add_co_ci_u32_e64 v1, null, v144, v131, vcc_lo
	s_delay_alu instid0(VALU_DEP_2) | instskip(NEXT) | instid1(VALU_DEP_1)
	v_add_co_u32 v3, vcc_lo, v0, s8
	v_add_co_ci_u32_e64 v2, null, s9, v1, vcc_lo
	v_add_co_u32 v0, vcc_lo, v130, v134
	s_delay_alu instid0(VALU_DEP_1) | instskip(SKIP_2) | instid1(VALU_DEP_1)
	v_add_co_ci_u32_e64 v1, null, v131, v135, vcc_lo
	scratch_store_b64 off, v[251:252], off offset:1864 ; 8-byte Folded Spill
	v_add_co_u32 v5, vcc_lo, v0, s8
	v_add_co_ci_u32_e64 v4, null, s9, v1, vcc_lo
	v_add_co_u32 v0, vcc_lo, v130, v136
	s_delay_alu instid0(VALU_DEP_1) | instskip(SKIP_2) | instid1(VALU_DEP_1)
	v_add_co_ci_u32_e64 v1, null, v131, v137, vcc_lo
	scratch_store_b64 off, v[134:135], off offset:2412 ; 8-byte Folded Spill
	;; [unrolled: 6-line block ×3, first 2 shown]
	v_add_co_u32 v132, vcc_lo, v0, s8
	v_add_co_ci_u32_e64 v8, null, s9, v1, vcc_lo
	v_add_co_u32 v0, vcc_lo, v130, v105
	s_delay_alu instid0(VALU_DEP_1) | instskip(SKIP_2) | instid1(VALU_DEP_1)
	v_add_co_ci_u32_e64 v1, null, v131, v106, vcc_lo
	scratch_load_b64 v[105:106], off, off offset:1856 ; 8-byte Folded Reload
	v_add_co_u32 v134, vcc_lo, v0, s8
	v_add_co_ci_u32_e64 v133, null, s9, v1, vcc_lo
	v_add_co_u32 v0, vcc_lo, v130, v180
	s_delay_alu instid0(VALU_DEP_1) | instskip(SKIP_1) | instid1(VALU_DEP_3)
	v_add_co_ci_u32_e64 v1, null, v131, v181, vcc_lo
	v_add_nc_u32_e32 v251, 0, v141
	v_add_co_u32 v136, vcc_lo, v0, s8
	s_delay_alu instid0(VALU_DEP_1)
	v_add_co_ci_u32_e64 v135, null, s9, v1, vcc_lo
.Ltmp50:
	.loc	1 165 23                        ; attention_bwd.py:165:23
	v_or_b32_e32 v252, 64, v239
	s_clause 0x8                            ; 40-byte Folded Spill
	scratch_store_b64 off, v[143:144], off offset:2404
	scratch_store_b32 off, v3, off offset:2452
	scratch_store_b32 off, v7, off offset:2476
	;; [unrolled: 1-line block ×8, first 2 shown]
.Ltmp51:
	.loc	1 47 25                         ; attention_bwd.py:47:25 @[ attention_bwd.py:184:50 ]
	s_waitcnt vmcnt(0)
	v_add_co_u32 v0, vcc_lo, v130, v105
	s_delay_alu instid0(VALU_DEP_1) | instskip(SKIP_2) | instid1(VALU_DEP_1)
	v_add_co_ci_u32_e64 v1, null, v131, v106, vcc_lo
	scratch_load_b64 v[105:106], off, off offset:1848 ; 8-byte Folded Reload
	v_add_co_u32 v138, vcc_lo, v0, s8
	v_add_co_ci_u32_e64 v137, null, s9, v1, vcc_lo
	s_clause 0x3                            ; 16-byte Folded Spill
	scratch_store_b32 off, v134, off offset:2492
	scratch_store_b32 off, v138, off offset:2512
	;; [unrolled: 1-line block ×4, first 2 shown]
	s_waitcnt vmcnt(0)
	v_add_co_u32 v0, vcc_lo, v130, v105
	s_delay_alu instid0(VALU_DEP_1)
	v_add_co_ci_u32_e64 v1, null, v131, v106, vcc_lo
	scratch_load_b64 v[105:106], off, off offset:1636 ; 8-byte Folded Reload
	v_add_co_u32 v139, vcc_lo, v0, s8
	scratch_load_b32 v0, off, off offset:652 ; 4-byte Folded Reload
	v_add_co_ci_u32_e64 v1, null, s9, v1, vcc_lo
	s_clause 0x3                            ; 16-byte Folded Spill
	scratch_store_b32 off, v136, off offset:2504
	scratch_store_b32 off, v139, off offset:2520
	;; [unrolled: 1-line block ×4, first 2 shown]
	s_waitcnt vmcnt(0)
	v_add_co_u32 v171, vcc_lo, s1, v0
	scratch_load_b32 v0, off, off offset:684 ; 4-byte Folded Reload
	s_waitcnt vmcnt(0)
	v_add_co_ci_u32_e64 v172, null, s59, v0, vcc_lo
	scratch_load_b32 v0, off, off offset:716 ; 4-byte Folded Reload
	s_waitcnt vmcnt(0)
	v_add_co_u32 v173, vcc_lo, s1, v0
	scratch_load_b32 v0, off, off offset:748 ; 4-byte Folded Reload
	s_waitcnt vmcnt(0)
	v_add_co_ci_u32_e64 v174, null, s59, v0, vcc_lo
	scratch_load_b32 v0, off, off offset:780 ; 4-byte Folded Reload
	;; [unrolled: 6-line block ×6, first 2 shown]
	s_waitcnt vmcnt(0)
	v_add_co_u32 v183, vcc_lo, s1, v0
	scratch_load_b32 v0, off, off offset:968 ; 4-byte Folded Reload
	s_waitcnt vmcnt(0)
	v_add_co_ci_u32_e64 v184, null, s59, v0, vcc_lo
	v_add_co_u32 v186, vcc_lo, s36, v3
	s_delay_alu instid0(VALU_DEP_1) | instskip(SKIP_1) | instid1(VALU_DEP_1)
	v_add_co_ci_u32_e64 v187, null, s37, v2, vcc_lo
	v_add_co_u32 v188, vcc_lo, s36, v5
	v_add_co_ci_u32_e64 v189, null, s37, v4, vcc_lo
	v_add_co_u32 v190, vcc_lo, s36, v7
	s_delay_alu instid0(VALU_DEP_1) | instskip(SKIP_1) | instid1(VALU_DEP_1)
	v_add_co_ci_u32_e64 v191, null, s37, v6, vcc_lo
	v_add_co_u32 v192, vcc_lo, s36, v132
	v_add_co_ci_u32_e64 v193, null, s37, v8, vcc_lo
	v_add_co_u32 v194, vcc_lo, s36, v134
	s_delay_alu instid0(VALU_DEP_1) | instskip(SKIP_4) | instid1(VALU_DEP_1)
	v_add_co_ci_u32_e64 v195, null, s37, v133, vcc_lo
	v_add_co_u32 v196, vcc_lo, s36, v136
	v_mov_b32_e32 v0, v105
	v_add_co_ci_u32_e64 v197, null, s37, v135, vcc_lo
	v_add_co_u32 v198, vcc_lo, s36, v138
	v_add_co_ci_u32_e64 v199, null, s37, v137, vcc_lo
	v_add_co_u32 v200, vcc_lo, s36, v139
	v_or_b32_e32 v185, 14, v0
	v_add_co_ci_u32_e64 v201, null, s37, v1, vcc_lo
.LBB0_1:                                ; =>This Inner Loop Header: Depth=1
	.loc	1 0 25 is_stmt 0                ; attention_bwd.py:0:25
	s_delay_alu instid0(VALU_DEP_3) | instskip(NEXT) | instid1(VALU_DEP_1)
	.loc	1 72 19 is_stmt 1               ; attention_bwd.py:72:19 @[ attention_bwd.py:184:50 ]
	v_add_co_u32 v0, vcc_lo, v200, s12
	v_add_co_ci_u32_e64 v1, null, s13, v201, vcc_lo
	.loc	1 52 24                         ; attention_bwd.py:52:24 @[ attention_bwd.py:184:50 ]
	v_dual_mov_b32 v144, s31 :: v_dual_mov_b32 v143, s30
	v_dual_mov_b32 v142, s29 :: v_dual_mov_b32 v141, s28
	.loc	1 48 21                         ; attention_bwd.py:48:21 @[ attention_bwd.py:184:50 ]
	global_load_u16 v133, v[0:1], off
	.loc	1 72 19                         ; attention_bwd.py:72:19 @[ attention_bwd.py:184:50 ]
	v_add_co_u32 v0, vcc_lo, v198, s12
	s_delay_alu instid0(VALU_DEP_1) | instskip(SKIP_4) | instid1(VALU_DEP_1)
	v_add_co_ci_u32_e64 v1, null, s13, v199, vcc_lo
	.loc	1 52 24                         ; attention_bwd.py:52:24 @[ attention_bwd.py:184:50 ]
	v_dual_mov_b32 v140, s27 :: v_dual_mov_b32 v139, s26
	v_dual_mov_b32 v138, s25 :: v_dual_mov_b32 v137, s24
	.loc	1 48 21                         ; attention_bwd.py:48:21 @[ attention_bwd.py:184:50 ]
	global_load_u16 v155, v[0:1], off
	.loc	1 72 19                         ; attention_bwd.py:72:19 @[ attention_bwd.py:184:50 ]
	v_add_co_u32 v0, vcc_lo, v196, s12
	v_add_co_ci_u32_e64 v1, null, s13, v197, vcc_lo
	.loc	1 71 18                         ; attention_bwd.py:71:18 @[ attention_bwd.py:184:50 ]
	v_add_nc_u32_e32 v235, -14, v185
	v_add_nc_u32_e32 v236, -8, v185
	;; [unrolled: 1-line block ×3, first 2 shown]
	.loc	1 48 21                         ; attention_bwd.py:48:21 @[ attention_bwd.py:184:50 ]
	global_load_u16 v156, v[0:1], off
	.loc	1 72 19                         ; attention_bwd.py:72:19 @[ attention_bwd.py:184:50 ]
	v_add_co_u32 v0, vcc_lo, v194, s12
	s_delay_alu instid0(VALU_DEP_1)
	v_add_co_ci_u32_e64 v1, null, s13, v195, vcc_lo
	.loc	1 57 36                         ; attention_bwd.py:57:36 @[ attention_bwd.py:184:50 ]
	v_cmp_ge_i32_e64 s0, v235, v239
	.loc	1 71 18                         ; attention_bwd.py:71:18 @[ attention_bwd.py:184:50 ]
	v_add_nc_u32_e32 v238, -4, v185
	v_add_nc_u32_e32 v249, -6, v185
	.loc	1 48 21                         ; attention_bwd.py:48:21 @[ attention_bwd.py:184:50 ]
	global_load_u16 v165, v[0:1], off
	.loc	1 72 19                         ; attention_bwd.py:72:19 @[ attention_bwd.py:184:50 ]
	v_add_co_u32 v0, vcc_lo, v192, s12
	s_delay_alu instid0(VALU_DEP_1) | instskip(SKIP_3) | instid1(VALU_DEP_1)
	v_add_co_ci_u32_e64 v1, null, s13, v193, vcc_lo
	.loc	1 71 18                         ; attention_bwd.py:71:18 @[ attention_bwd.py:184:50 ]
	v_add_nc_u32_e32 v132, -2, v185
	.loc	1 48 21                         ; attention_bwd.py:48:21 @[ attention_bwd.py:184:50 ]
	global_load_u16 v166, v[0:1], off
	.loc	1 72 19                         ; attention_bwd.py:72:19 @[ attention_bwd.py:184:50 ]
	v_add_co_u32 v0, vcc_lo, v190, s12
	v_add_co_ci_u32_e64 v1, null, s13, v191, vcc_lo
	.loc	1 48 21                         ; attention_bwd.py:48:21 @[ attention_bwd.py:184:50 ]
	global_load_u16 v167, v[0:1], off
	.loc	1 72 19                         ; attention_bwd.py:72:19 @[ attention_bwd.py:184:50 ]
	v_add_co_u32 v0, vcc_lo, v188, s12
	s_delay_alu instid0(VALU_DEP_1) | instskip(SKIP_2) | instid1(VALU_DEP_1)
	v_add_co_ci_u32_e64 v1, null, s13, v189, vcc_lo
	.loc	1 48 21                         ; attention_bwd.py:48:21 @[ attention_bwd.py:184:50 ]
	global_load_u16 v168, v[0:1], off
	.loc	1 73 19                         ; attention_bwd.py:73:19 @[ attention_bwd.py:184:50 ]
	v_add_co_u32 v0, vcc_lo, v186, s12
	v_add_co_ci_u32_e64 v1, null, s13, v187, vcc_lo
	.loc	1 48 21                         ; attention_bwd.py:48:21 @[ attention_bwd.py:184:50 ]
	global_load_u16 v130, v[0:1], off
	.loc	1 69 26                         ; attention_bwd.py:69:26 @[ attention_bwd.py:184:50 ]
	s_waitcnt vmcnt(0) lgkmcnt(0)
	s_waitcnt_vscnt null, 0x0
	s_barrier
	buffer_gl0_inv
	.loc	1 52 24                         ; attention_bwd.py:52:24 @[ attention_bwd.py:184:50 ]
	s_clause 0x1                            ; 32-byte Folded Reload
	scratch_load_b128 v[0:3], off, off offset:164
	scratch_load_b128 v[4:7], off, off offset:180
	.loc	1 48 21                         ; attention_bwd.py:48:21 @[ attention_bwd.py:184:50 ]
	ds_load_u16 v218, v240
	ds_load_u16 v219, v240 offset:64
	ds_load_u16 v220, v240 offset:128
	;; [unrolled: 1-line block ×15, first 2 shown]
	s_waitcnt lgkmcnt(15)
	ds_load_u16_d16_hi v218, v240 offset:32
	s_waitcnt lgkmcnt(15)
	ds_load_u16_d16_hi v219, v240 offset:96
	;; [unrolled: 2-line block ×16, first 2 shown]
	.loc	1 52 24                         ; attention_bwd.py:52:24 @[ attention_bwd.py:184:50 ]
	s_waitcnt vmcnt(0) lgkmcnt(8)
	v_wmma_f32_16x16x16_f16 v[241:248], v[218:225], v[0:7], v[137:144]
	s_clause 0x1                            ; 32-byte Folded Reload
	scratch_load_b128 v[0:3], off, off offset:196
	scratch_load_b128 v[4:7], off, off offset:212
	s_waitcnt vmcnt(0)
	v_wmma_f32_16x16x16_f16 v[145:152], v[218:225], v[0:7], v[137:144]
	s_clause 0x1                            ; 32-byte Folded Reload
	scratch_load_b128 v[0:3], off, off offset:132
	scratch_load_b128 v[4:7], off, off offset:148
	.loc	1 48 21                         ; attention_bwd.py:48:21 @[ attention_bwd.py:184:50 ]
	ds_load_u16 v218, v240 offset:1024
	ds_load_u16 v219, v240 offset:1088
	;; [unrolled: 1-line block ×8, first 2 shown]
	s_waitcnt lgkmcnt(7)
	ds_load_u16_d16_hi v218, v240 offset:1056
	s_waitcnt lgkmcnt(7)
	ds_load_u16_d16_hi v219, v240 offset:1120
	;; [unrolled: 2-line block ×8, first 2 shown]
	.loc	1 52 24                         ; attention_bwd.py:52:24 @[ attention_bwd.py:184:50 ]
	s_waitcnt vmcnt(0)
	v_wmma_f32_16x16x16_f16 v[241:248], v[226:233], v[0:7], v[241:248]
	s_clause 0x1                            ; 32-byte Folded Reload
	scratch_load_b128 v[0:3], off, off offset:100
	scratch_load_b128 v[4:7], off, off offset:116
	s_waitcnt vmcnt(0)
	v_wmma_f32_16x16x16_f16 v[145:152], v[226:233], v[0:7], v[145:152]
	s_clause 0x1                            ; 32-byte Folded Reload
	scratch_load_b128 v[0:3], off, off offset:68
	scratch_load_b128 v[4:7], off, off offset:84
	s_waitcnt vmcnt(0) lgkmcnt(0)
	v_wmma_f32_16x16x16_f16 v[241:248], v[218:225], v[0:7], v[241:248]
	s_clause 0x1                            ; 32-byte Folded Reload
	scratch_load_b128 v[0:3], off, off offset:36
	scratch_load_b128 v[4:7], off, off offset:52
	s_waitcnt vmcnt(0)
	v_wmma_f32_16x16x16_f16 v[145:152], v[218:225], v[0:7], v[145:152]
	s_clause 0x1                            ; 32-byte Folded Reload
	scratch_load_b128 v[0:3], off, off offset:452
	scratch_load_b128 v[4:7], off, off offset:468
	.loc	1 48 21                         ; attention_bwd.py:48:21 @[ attention_bwd.py:184:50 ]
	ds_load_u16 v218, v240 offset:1536
	ds_load_u16 v219, v240 offset:1600
	;; [unrolled: 1-line block ×8, first 2 shown]
	s_waitcnt lgkmcnt(7)
	ds_load_u16_d16_hi v218, v240 offset:1568
	s_waitcnt lgkmcnt(7)
	ds_load_u16_d16_hi v219, v240 offset:1632
	;; [unrolled: 2-line block ×8, first 2 shown]
	.loc	1 52 24                         ; attention_bwd.py:52:24 @[ attention_bwd.py:184:50 ]
	s_waitcnt vmcnt(0) lgkmcnt(0)
	v_wmma_f32_16x16x16_f16 v[241:248], v[218:225], v[0:7], v[241:248]
	s_clause 0x1                            ; 32-byte Folded Reload
	scratch_load_b128 v[0:3], off, off offset:420
	scratch_load_b128 v[4:7], off, off offset:436
	s_waitcnt vmcnt(0)
	v_wmma_f32_16x16x16_f16 v[145:152], v[218:225], v[0:7], v[145:152]
	.loc	1 53 32                         ; attention_bwd.py:53:32 @[ attention_bwd.py:184:50 ]
	v_dual_sub_f32 v0, v241, v209 :: v_dual_sub_f32 v1, v242, v208
	v_dual_sub_f32 v2, v243, v207 :: v_dual_sub_f32 v3, v244, v206
	s_delay_alu instid0(VALU_DEP_3) | instskip(NEXT) | instid1(VALU_DEP_3)
	v_dual_sub_f32 v234, v147, v207 :: v_dual_sub_f32 v135, v148, v206
	.loc	1 53 26 is_stmt 0               ; attention_bwd.py:53:26 @[ attention_bwd.py:184:50 ]
	v_exp_f32_e32 v0, v0
	s_delay_alu instid0(VALU_DEP_3) | instskip(SKIP_1) | instid1(VALU_DEP_2)
	v_exp_f32_e32 v1, v1
	.loc	1 53 32                         ; attention_bwd.py:53:32 @[ attention_bwd.py:184:50 ]
	v_dual_sub_f32 v4, v245, v205 :: v_dual_sub_f32 v5, v246, v204
	.loc	1 53 26                         ; attention_bwd.py:53:26 @[ attention_bwd.py:184:50 ]
	v_exp_f32_e32 v135, v135
	.loc	1 71 18 is_stmt 1               ; attention_bwd.py:71:18 @[ attention_bwd.py:184:50 ]
	v_add_nc_u32_e32 v136, -12, v185
	.loc	1 53 32                         ; attention_bwd.py:53:32 @[ attention_bwd.py:184:50 ]
	v_dual_sub_f32 v6, v247, v203 :: v_dual_sub_f32 v7, v248, v202
	v_sub_f32_e32 v205, v149, v205
	v_dual_sub_f32 v207, v150, v204 :: v_dual_sub_f32 v134, v152, v202
	s_delay_alu instid0(VALU_DEP_4)
	.loc	1 57 36                         ; attention_bwd.py:57:36 @[ attention_bwd.py:184:50 ]
	v_cmp_ge_i32_e32 vcc_lo, v136, v239
	.loc	1 53 32                         ; attention_bwd.py:53:32 @[ attention_bwd.py:184:50 ]
	v_sub_f32_e32 v204, v151, v203
	.loc	1 57 36                         ; attention_bwd.py:57:36 @[ attention_bwd.py:184:50 ]
	v_cndmask_b32_e64 v203, 0, v0, s0
	.loc	1 53 32                         ; attention_bwd.py:53:32 @[ attention_bwd.py:184:50 ]
	v_dual_sub_f32 v8, v145, v209 :: v_dual_sub_f32 v209, v146, v208
	.loc	1 57 36                         ; attention_bwd.py:57:36 @[ attention_bwd.py:184:50 ]
	v_cndmask_b32_e32 v202, 0, v1, vcc_lo
	v_cmp_ge_i32_e32 vcc_lo, v236, v239
	s_delay_alu instid0(VALU_DEP_4) | instskip(SKIP_3) | instid1(VALU_DEP_1)
	.loc	1 61 21                         ; attention_bwd.py:61:21 @[ attention_bwd.py:184:50 ]
	v_cvt_f16_f32_e64 v0, v203
	.loc	1 57 36                         ; attention_bwd.py:57:36 @[ attention_bwd.py:184:50 ]
	v_cmp_ge_i32_e64 s0, v237, v239
	.loc	1 53 26                         ; attention_bwd.py:53:26 @[ attention_bwd.py:184:50 ]
	v_exp_f32_e32 v8, v8
	.loc	1 61 21                         ; attention_bwd.py:61:21 @[ attention_bwd.py:184:50 ]
	v_cvt_f16_f32_e64 v1, v202
	v_pack_b32_f16 v0, v0, v1
	s_delay_alu instid0(VALU_DEP_1) | instskip(NEXT) | instid1(VALU_DEP_1)
	v_permlanex16_b32 v1, v0, s58, 0xfedcba98 op_sel:[1,0]
	v_perm_b32 v145, v1, v0, v129
	v_perm_b32 v146, v1, v0, v254
	.loc	1 53 26                         ; attention_bwd.py:53:26 @[ attention_bwd.py:184:50 ]
	v_exp_f32_e32 v0, v2
	v_exp_f32_e32 v1, v3
	.loc	1 57 36                         ; attention_bwd.py:57:36 @[ attention_bwd.py:184:50 ]
	s_waitcnt_depctr depctr_va_vdst(0)
	v_cndmask_b32_e64 v208, 0, v0, s0
	v_cndmask_b32_e32 v206, 0, v1, vcc_lo
	v_cmp_ge_i32_e32 vcc_lo, v238, v239
	v_cmp_ge_i32_e64 s0, v249, v239
	s_delay_alu instid0(VALU_DEP_4) | instskip(NEXT) | instid1(VALU_DEP_4)
	.loc	1 61 21                         ; attention_bwd.py:61:21 @[ attention_bwd.py:184:50 ]
	v_cvt_f16_f32_e64 v0, v208
	v_cvt_f16_f32_e64 v1, v206
	s_delay_alu instid0(VALU_DEP_1) | instskip(NEXT) | instid1(VALU_DEP_1)
	v_pack_b32_f16 v0, v0, v1
	v_permlanex16_b32 v1, v0, s58, 0xfedcba98 op_sel:[1,0]
	s_delay_alu instid0(VALU_DEP_1)
	v_perm_b32 v147, v1, v0, v129
	v_perm_b32 v148, v1, v0, v254
	.loc	1 53 26                         ; attention_bwd.py:53:26 @[ attention_bwd.py:184:50 ]
	v_exp_f32_e32 v0, v4
	v_exp_f32_e32 v1, v5
	.loc	1 57 36                         ; attention_bwd.py:57:36 @[ attention_bwd.py:184:50 ]
	s_waitcnt_depctr depctr_va_vdst(0)
	v_cndmask_b32_e64 v250, 0, v0, s0
	v_cndmask_b32_e32 v253, 0, v1, vcc_lo
	v_cmp_ge_i32_e32 vcc_lo, v185, v239
	v_cmp_ge_i32_e64 s0, v132, v239
	s_delay_alu instid0(VALU_DEP_4) | instskip(NEXT) | instid1(VALU_DEP_4)
	.loc	1 61 21                         ; attention_bwd.py:61:21 @[ attention_bwd.py:184:50 ]
	v_cvt_f16_f32_e64 v0, v250
	v_cvt_f16_f32_e64 v1, v253
	s_delay_alu instid0(VALU_DEP_1) | instskip(NEXT) | instid1(VALU_DEP_1)
	v_pack_b32_f16 v0, v0, v1
	v_permlanex16_b32 v1, v0, s58, 0xfedcba98 op_sel:[1,0]
	s_delay_alu instid0(VALU_DEP_1)
	v_perm_b32 v149, v1, v0, v129
	v_perm_b32 v150, v1, v0, v254
	.loc	1 53 26                         ; attention_bwd.py:53:26 @[ attention_bwd.py:184:50 ]
	v_exp_f32_e32 v0, v6
	v_exp_f32_e32 v1, v7
	.loc	1 57 36                         ; attention_bwd.py:57:36 @[ attention_bwd.py:184:50 ]
	s_waitcnt_depctr depctr_va_vdst(0)
	v_cndmask_b32_e64 v153, 0, v0, s0
	v_cndmask_b32_e32 v154, 0, v1, vcc_lo
	v_cmp_ge_i32_e32 vcc_lo, v136, v252
	v_cmp_ge_i32_e64 s0, v235, v252
	s_delay_alu instid0(VALU_DEP_4) | instskip(NEXT) | instid1(VALU_DEP_4)
	.loc	1 61 21                         ; attention_bwd.py:61:21 @[ attention_bwd.py:184:50 ]
	v_cvt_f16_f32_e64 v0, v153
	v_cvt_f16_f32_e64 v1, v154
	s_delay_alu instid0(VALU_DEP_3) | instskip(SKIP_1) | instid1(VALU_DEP_3)
	.loc	1 57 36                         ; attention_bwd.py:57:36 @[ attention_bwd.py:184:50 ]
	v_cndmask_b32_e64 v8, 0, v8, s0
	v_cmp_ge_i32_e64 s0, v237, v252
	.loc	1 61 21                         ; attention_bwd.py:61:21 @[ attention_bwd.py:184:50 ]
	v_pack_b32_f16 v0, v0, v1
	s_delay_alu instid0(VALU_DEP_1) | instskip(NEXT) | instid1(VALU_DEP_1)
	v_permlanex16_b32 v1, v0, s58, 0xfedcba98 op_sel:[1,0]
	v_perm_b32 v151, v1, v0, v129
	v_perm_b32 v152, v1, v0, v254
	.loc	1 58 21                         ; attention_bwd.py:58:21 @[ attention_bwd.py:184:50 ]
	ds_load_u16 v220, v240 offset:2624
	ds_load_u16 v221, v240 offset:2880
	;; [unrolled: 1-line block ×31, first 2 shown]
	s_waitcnt lgkmcnt(25)
	ds_load_u16_d16_hi v242, v240 offset:2528
	ds_load_u16 v241, v240 offset:2144
	ds_load_u16_d16_hi v220, v240 offset:2752
	ds_load_u16_d16_hi v229, v240 offset:2944
	;; [unrolled: 1-line block ×3, first 2 shown]
	s_waitcnt lgkmcnt(27)
	ds_load_u16_d16_hi v230, v240 offset:3200
	s_waitcnt lgkmcnt(26)
	ds_load_u16_d16_hi v222, v240 offset:3264
	;; [unrolled: 2-line block ×8, first 2 shown]
	ds_load_u16_d16_hi v228, v240 offset:2688
	s_waitcnt lgkmcnt(17)
	ds_load_u16_d16_hi v227, v240 offset:2432
	ds_load_u16_d16_hi v226, v240 offset:2176
	s_waitcnt lgkmcnt(18)
	ds_load_u16_d16_hi v0, v240 offset:2208
	s_waitcnt lgkmcnt(18)
	;; [unrolled: 2-line block ×3, first 2 shown]
	ds_load_u16_d16_hi v241, v240 offset:2272
	ds_load_u16_d16_hi v1, v240 offset:2464
	ds_load_u16_d16_hi v219, v240 offset:2496
	ds_load_u16_d16_hi v2, v240 offset:2720
	ds_load_u16_d16_hi v243, v240 offset:2784
	ds_load_u16_d16_hi v3, v240 offset:2976
	ds_load_u16_d16_hi v244, v240 offset:3040
	ds_load_u16_d16_hi v4, v240 offset:3232
	ds_load_u16_d16_hi v245, v240 offset:3296
	ds_load_u16_d16_hi v5, v240 offset:3488
	ds_load_u16_d16_hi v246, v240 offset:3552
	ds_load_u16_d16_hi v6, v240 offset:3744
	ds_load_u16_d16_hi v247, v240 offset:3808
	ds_load_u16_d16_hi v7, v240 offset:4000
	ds_load_u16_d16_hi v248, v240 offset:4064
	.loc	1 62 26                         ; attention_bwd.py:62:26 @[ attention_bwd.py:184:50 ]
	s_waitcnt lgkmcnt(17)
	v_wmma_f32_16x16x16_f16 v[65:72], v[226:233], v[145:152], v[65:72]
	s_waitcnt lgkmcnt(12)
	v_wmma_f32_16x16x16_f16 v[81:88], v[218:225], v[145:152], v[81:88]
	;; [unrolled: 2-line block ×4, first 2 shown]
	.loc	1 53 26                         ; attention_bwd.py:53:26 @[ attention_bwd.py:184:50 ]
	v_exp_f32_e32 v145, v209
	v_exp_f32_e32 v150, v205
	.loc	1 57 36                         ; attention_bwd.py:57:36 @[ attention_bwd.py:184:50 ]
	s_waitcnt_depctr depctr_va_vdst(0)
	v_cndmask_b32_e32 v136, 0, v145, vcc_lo
	.loc	1 61 21                         ; attention_bwd.py:61:21 @[ attention_bwd.py:184:50 ]
	v_cvt_f16_f32_e64 v145, v8
	.loc	1 57 36                         ; attention_bwd.py:57:36 @[ attention_bwd.py:184:50 ]
	v_cmp_ge_i32_e32 vcc_lo, v236, v252
	s_delay_alu instid0(VALU_DEP_3) | instskip(SKIP_2) | instid1(VALU_DEP_3)
	.loc	1 61 21                         ; attention_bwd.py:61:21 @[ attention_bwd.py:184:50 ]
	v_cvt_f16_f32_e64 v146, v136
	.loc	1 57 36                         ; attention_bwd.py:57:36 @[ attention_bwd.py:184:50 ]
	v_cndmask_b32_e32 v135, 0, v135, vcc_lo
	v_cmp_ge_i32_e32 vcc_lo, v238, v252
	.loc	1 61 21                         ; attention_bwd.py:61:21 @[ attention_bwd.py:184:50 ]
	v_pack_b32_f16 v146, v145, v146
	s_delay_alu instid0(VALU_DEP_3) | instskip(NEXT) | instid1(VALU_DEP_2)
	v_cvt_f16_f32_e64 v148, v135
	v_permlanex16_b32 v147, v146, s58, 0xfedcba98 op_sel:[1,0]
	s_delay_alu instid0(VALU_DEP_1)
	v_perm_b32 v145, v147, v146, v129
	v_perm_b32 v146, v147, v146, v254
	.loc	1 53 26                         ; attention_bwd.py:53:26 @[ attention_bwd.py:184:50 ]
	v_exp_f32_e32 v147, v234
	.loc	1 57 36                         ; attention_bwd.py:57:36 @[ attention_bwd.py:184:50 ]
	s_waitcnt_depctr depctr_va_vdst(0)
	v_cndmask_b32_e64 v234, 0, v147, s0
	v_cmp_ge_i32_e64 s0, v249, v252
	s_delay_alu instid0(VALU_DEP_2) | instskip(NEXT) | instid1(VALU_DEP_2)
	.loc	1 61 21                         ; attention_bwd.py:61:21 @[ attention_bwd.py:184:50 ]
	v_cvt_f16_f32_e64 v147, v234
	.loc	1 57 36                         ; attention_bwd.py:57:36 @[ attention_bwd.py:184:50 ]
	v_cndmask_b32_e64 v235, 0, v150, s0
	v_cmp_ge_i32_e64 s0, v185, v252
	.loc	1 47 25                         ; attention_bwd.py:47:25 @[ attention_bwd.py:184:50 ]
	v_add_nc_u32_e32 v185, 16, v185
	s_delay_alu instid0(VALU_DEP_4) | instskip(NEXT) | instid1(VALU_DEP_1)
	.loc	1 61 21                         ; attention_bwd.py:61:21 @[ attention_bwd.py:184:50 ]
	v_pack_b32_f16 v148, v147, v148
	v_permlanex16_b32 v149, v148, s58, 0xfedcba98 op_sel:[1,0]
	s_delay_alu instid0(VALU_DEP_1)
	v_perm_b32 v147, v149, v148, v129
	v_perm_b32 v148, v149, v148, v254
	.loc	1 53 26                         ; attention_bwd.py:53:26 @[ attention_bwd.py:184:50 ]
	v_exp_f32_e32 v149, v207
	.loc	1 57 36                         ; attention_bwd.py:57:36 @[ attention_bwd.py:184:50 ]
	s_waitcnt_depctr depctr_va_vdst(0)
	v_cndmask_b32_e32 v236, 0, v149, vcc_lo
	.loc	1 61 21                         ; attention_bwd.py:61:21 @[ attention_bwd.py:184:50 ]
	v_cvt_f16_f32_e64 v149, v235
	.loc	1 57 36                         ; attention_bwd.py:57:36 @[ attention_bwd.py:184:50 ]
	v_cmp_ge_i32_e32 vcc_lo, v132, v252
	.loc	1 53 26                         ; attention_bwd.py:53:26 @[ attention_bwd.py:184:50 ]
	v_exp_f32_e32 v132, v134
	s_delay_alu instid0(VALU_DEP_3) | instskip(NEXT) | instid1(VALU_DEP_1)
	.loc	1 61 21                         ; attention_bwd.py:61:21 @[ attention_bwd.py:184:50 ]
	v_cvt_f16_f32_e64 v150, v236
	v_pack_b32_f16 v150, v149, v150
	.loc	1 57 36                         ; attention_bwd.py:57:36 @[ attention_bwd.py:184:50 ]
	s_waitcnt_depctr depctr_va_vdst(0)
	v_cndmask_b32_e64 v132, 0, v132, s0
	.loc	1 61 21                         ; attention_bwd.py:61:21 @[ attention_bwd.py:184:50 ]
	v_permlanex16_b32 v151, v150, s58, 0xfedcba98 op_sel:[1,0]
	s_delay_alu instid0(VALU_DEP_1)
	v_perm_b32 v149, v151, v150, v129
	v_perm_b32 v150, v151, v150, v254
	.loc	1 53 26                         ; attention_bwd.py:53:26 @[ attention_bwd.py:184:50 ]
	v_exp_f32_e32 v151, v204
	.loc	1 57 36                         ; attention_bwd.py:57:36 @[ attention_bwd.py:184:50 ]
	s_waitcnt_depctr depctr_va_vdst(0)
	v_cndmask_b32_e32 v237, 0, v151, vcc_lo
	.loc	1 61 21                         ; attention_bwd.py:61:21 @[ attention_bwd.py:184:50 ]
	v_cvt_f16_f32_e64 v151, v132
	s_delay_alu instid0(VALU_DEP_2) | instskip(NEXT) | instid1(VALU_DEP_1)
	v_cvt_f16_f32_e64 v134, v237
	v_pack_b32_f16 v134, v134, v151
	s_delay_alu instid0(VALU_DEP_1) | instskip(NEXT) | instid1(VALU_DEP_1)
	v_permlanex16_b32 v152, v134, s58, 0xfedcba98 op_sel:[1,0]
	v_perm_b32 v151, v152, v134, v129
	v_perm_b32 v152, v152, v134, v254
	s_delay_alu instid0(VALU_DEP_1)
	.loc	1 62 26                         ; attention_bwd.py:62:26 @[ attention_bwd.py:184:50 ]
	v_wmma_f32_16x16x16_f16 v[97:104], v[226:233], v[145:152], v[97:104]
	v_wmma_f32_16x16x16_f16 v[113:120], v[218:225], v[145:152], v[113:120]
	;; [unrolled: 1-line block ×3, first 2 shown]
	.loc	1 66 24                         ; attention_bwd.py:66:24 @[ attention_bwd.py:184:50 ]
	s_clause 0x3                            ; 64-byte Folded Reload
	scratch_load_b128 v[218:221], off, off offset:356
	scratch_load_b128 v[222:225], off, off offset:372
	;; [unrolled: 1-line block ×4, first 2 shown]
	v_dual_mov_b32 v112, v104 :: v_dual_mov_b32 v111, v103
	v_dual_mov_b32 v110, v102 :: v_dual_mov_b32 v109, v101
	;; [unrolled: 1-line block ×16, first 2 shown]
	.loc	1 62 26                         ; attention_bwd.py:62:26 @[ attention_bwd.py:184:50 ]
	s_clause 0x3                            ; 64-byte Folded Reload
	scratch_load_b128 v[57:60], off, off offset:484
	scratch_load_b128 v[61:64], off, off offset:500
	;; [unrolled: 1-line block ×4, first 2 shown]
	s_waitcnt vmcnt(0)
	v_wmma_f32_16x16x16_f16 v[226:233], v[0:7], v[145:152], v[226:233]
	s_clause 0x1                            ; 32-byte Folded Spill
	scratch_store_b128 off, v[226:229], off offset:4
	scratch_store_b128 off, v[230:233], off offset:20
	.loc	1 66 24                         ; attention_bwd.py:66:24 @[ attention_bwd.py:184:50 ]
	s_clause 0x2                            ; 36-byte Folded Reload
	scratch_load_b128 v[226:229], off, off offset:516
	scratch_load_b128 v[230:233], off, off offset:532
	scratch_load_b32 v0, off, off
	s_waitcnt vmcnt(0)
	v_add_nc_u32_e32 v131, 0, v0
	ds_load_b128 v[0:3], v131 offset:2048
	ds_load_b128 v[4:7], v131 offset:2064
	s_waitcnt lgkmcnt(0)
	v_wmma_f32_16x16x16_f16 v[145:152], v[0:7], v[218:225], v[137:144]
	v_wmma_f32_16x16x16_f16 v[218:225], v[0:7], v[241:248], v[137:144]
	s_clause 0x1                            ; 32-byte Folded Reload
	scratch_load_b128 v[137:140], off, off offset:292
	scratch_load_b128 v[141:144], off, off offset:308
	ds_load_b128 v[0:3], v131 offset:2080
	ds_load_b128 v[4:7], v131 offset:2096
	v_dual_mov_b32 v248, v233 :: v_dual_mov_b32 v243, v228
	v_dual_mov_b32 v247, v232 :: v_dual_mov_b32 v246, v231
	v_mov_b32_e32 v241, v226
	v_dual_mov_b32 v245, v230 :: v_dual_mov_b32 v244, v229
	v_dual_mov_b32 v242, v227 :: v_dual_mov_b32 v233, v64
	;; [unrolled: 1-line block ×5, first 2 shown]
	v_mov_b32_e32 v226, v57
	v_mov_b32_e32 v57, v81
	v_dual_mov_b32 v59, v83 :: v_dual_mov_b32 v58, v82
	v_dual_mov_b32 v61, v85 :: v_dual_mov_b32 v60, v84
	;; [unrolled: 1-line block ×14, first 2 shown]
	v_mov_b32_e32 v103, v111
	s_waitcnt vmcnt(0) lgkmcnt(0)
	v_wmma_f32_16x16x16_f16 v[145:152], v[0:7], v[137:144], v[145:152]
	s_clause 0x1                            ; 32-byte Folded Reload
	scratch_load_b128 v[137:140], off, off offset:324
	scratch_load_b128 v[141:144], off, off offset:340
	s_waitcnt vmcnt(0)
	v_wmma_f32_16x16x16_f16 v[218:225], v[0:7], v[137:144], v[218:225]
	s_clause 0x1                            ; 32-byte Folded Reload
	scratch_load_b128 v[137:140], off, off offset:228
	scratch_load_b128 v[141:144], off, off offset:244
	ds_load_b128 v[0:3], v131 offset:2112
	ds_load_b128 v[4:7], v131 offset:2128
	s_waitcnt vmcnt(0) lgkmcnt(0)
	v_wmma_f32_16x16x16_f16 v[145:152], v[0:7], v[137:144], v[145:152]
	s_clause 0x1                            ; 32-byte Folded Reload
	scratch_load_b128 v[137:140], off, off offset:260
	scratch_load_b128 v[141:144], off, off offset:276
	s_waitcnt vmcnt(0)
	v_wmma_f32_16x16x16_f16 v[218:225], v[0:7], v[137:144], v[218:225]
	ds_load_b128 v[0:3], v131 offset:2144
	ds_load_b128 v[4:7], v131 offset:2160
	s_waitcnt lgkmcnt(0)
	v_wmma_f32_16x16x16_f16 v[145:152], v[0:7], v[241:248], v[145:152]
	v_wmma_f32_16x16x16_f16 v[218:225], v[0:7], v[226:233], v[218:225]
	v_mov_b32_e32 v102, v110
	s_delay_alu instid0(VALU_DEP_3) | instskip(NEXT) | instid1(VALU_DEP_4)
	v_dual_mov_b32 v104, v112 :: v_dual_sub_f32 v1, v146, v163
	.loc	1 67 26                         ; attention_bwd.py:67:26 @[ attention_bwd.py:184:50 ]
	v_dual_sub_f32 v0, v145, v164 :: v_dual_sub_f32 v5, v150, v159
	v_dual_sub_f32 v2, v147, v162 :: v_dual_sub_f32 v7, v152, v157
	;; [unrolled: 1-line block ×4, first 2 shown]
	v_sub_f32_e32 v3, v148, v161
	.loc	1 68 21                         ; attention_bwd.py:68:21 @[ attention_bwd.py:184:50 ]
	v_fma_mixlo_f16 v137, v203, v0, 0
	v_fma_mixlo_f16 v138, v208, v2, 0
	;; [unrolled: 1-line block ×4, first 2 shown]
	.loc	1 67 26                         ; attention_bwd.py:67:26 @[ attention_bwd.py:184:50 ]
	v_dual_sub_f32 v218, v218, v164 :: v_dual_sub_f32 v223, v223, v159
	.loc	1 68 21                         ; attention_bwd.py:68:21 @[ attention_bwd.py:184:50 ]
	v_fma_mixhi_f16 v137, v202, v1, 0
	v_fma_mixhi_f16 v138, v206, v3, 0
	;; [unrolled: 1-line block ×4, first 2 shown]
	.loc	1 67 26                         ; attention_bwd.py:67:26 @[ attention_bwd.py:184:50 ]
	v_dual_sub_f32 v220, v220, v162 :: v_dual_sub_f32 v225, v225, v157
	.loc	1 68 21                         ; attention_bwd.py:68:21 @[ attention_bwd.py:184:50 ]
	v_permlanex16_b32 v1, v137, s58, 0xfedcba98 op_sel:[1,0]
	v_permlanex16_b32 v3, v138, s58, 0xfedcba98 op_sel:[1,0]
	v_permlanex16_b32 v5, v139, s58, 0xfedcba98 op_sel:[1,0]
	v_permlanex16_b32 v7, v140, s58, 0xfedcba98 op_sel:[1,0]
	.loc	1 67 26                         ; attention_bwd.py:67:26 @[ attention_bwd.py:184:50 ]
	v_sub_f32_e32 v222, v222, v160
	v_sub_f32_e32 v224, v224, v158
	.loc	1 68 21                         ; attention_bwd.py:68:21 @[ attention_bwd.py:184:50 ]
	v_perm_b32 v0, v1, v137, v129
	v_perm_b32 v1, v1, v137, v254
	;; [unrolled: 1-line block ×8, first 2 shown]
	.loc	1 69 26                         ; attention_bwd.py:69:26 @[ attention_bwd.py:184:50 ]
	ds_load_b128 v[137:140], v251
	ds_load_b128 v[141:144], v251 offset:16
	ds_load_b128 v[145:148], v251 offset:512
	;; [unrolled: 1-line block ×7, first 2 shown]
	s_waitcnt lgkmcnt(6)
	v_wmma_f32_16x16x16_f16 v[210:217], v[137:144], v[0:7], v[210:217]
	s_waitcnt lgkmcnt(4)
	v_wmma_f32_16x16x16_f16 v[73:80], v[145:152], v[0:7], v[73:80]
	;; [unrolled: 2-line block ×4, first 2 shown]
	.loc	1 68 21                         ; attention_bwd.py:68:21 @[ attention_bwd.py:184:50 ]
	v_fma_mixlo_f16 v1, v8, v218, 0
	v_fma_mixlo_f16 v3, v234, v220, 0
	;; [unrolled: 1-line block ×4, first 2 shown]
	s_delay_alu instid0(VALU_DEP_4) | instskip(NEXT) | instid1(VALU_DEP_4)
	v_fma_mixhi_f16 v1, v136, v219, 0
	v_fma_mixhi_f16 v3, v135, v221, 0
	s_delay_alu instid0(VALU_DEP_4) | instskip(NEXT) | instid1(VALU_DEP_4)
	v_fma_mixhi_f16 v5, v236, v223, 0
	v_fma_mixhi_f16 v7, v132, v225, 0
	s_delay_alu instid0(VALU_DEP_4) | instskip(NEXT) | instid1(VALU_DEP_4)
	v_permlanex16_b32 v2, v1, s58, 0xfedcba98 op_sel:[1,0]
	v_permlanex16_b32 v4, v3, s58, 0xfedcba98 op_sel:[1,0]
	s_delay_alu instid0(VALU_DEP_4) | instskip(NEXT) | instid1(VALU_DEP_4)
	v_permlanex16_b32 v6, v5, s58, 0xfedcba98 op_sel:[1,0]
	v_permlanex16_b32 v8, v7, s58, 0xfedcba98 op_sel:[1,0]
	s_delay_alu instid0(VALU_DEP_4)
	v_perm_b32 v0, v2, v1, v129
	v_perm_b32 v1, v2, v1, v254
	v_perm_b32 v2, v4, v3, v129
	v_perm_b32 v3, v4, v3, v254
	v_perm_b32 v4, v6, v5, v129
	v_perm_b32 v5, v6, v5, v254
	v_perm_b32 v6, v8, v7, v129
	v_perm_b32 v7, v8, v7, v254
	s_delay_alu instid0(VALU_DEP_1) | instskip(SKIP_4) | instid1(VALU_DEP_1)
	.loc	1 69 26                         ; attention_bwd.py:69:26 @[ attention_bwd.py:184:50 ]
	v_wmma_f32_16x16x16_f16 v[25:32], v[137:144], v[0:7], v[25:32]
	v_wmma_f32_16x16x16_f16 v[33:40], v[145:152], v[0:7], v[33:40]
	;; [unrolled: 1-line block ×4, first 2 shown]
	.loc	1 73 19                         ; attention_bwd.py:73:19 @[ attention_bwd.py:184:50 ]
	v_add_co_u32 v0, vcc_lo, v169, s12
	v_add_co_ci_u32_e64 v1, null, s13, v170, vcc_lo
	.loc	1 58 21                         ; attention_bwd.py:58:21 @[ attention_bwd.py:184:50 ]
	global_load_u16 v2, v[0:1], off
	.loc	1 73 19                         ; attention_bwd.py:73:19 @[ attention_bwd.py:184:50 ]
	v_add_co_u32 v0, vcc_lo, v183, s12
	s_delay_alu instid0(VALU_DEP_1) | instskip(SKIP_2) | instid1(VALU_DEP_1)
	v_add_co_ci_u32_e64 v1, null, s13, v184, vcc_lo
	.loc	1 58 21                         ; attention_bwd.py:58:21 @[ attention_bwd.py:184:50 ]
	global_load_u16 v3, v[0:1], off
	.loc	1 73 19                         ; attention_bwd.py:73:19 @[ attention_bwd.py:184:50 ]
	v_add_co_u32 v0, vcc_lo, v181, s12
	v_add_co_ci_u32_e64 v1, null, s13, v182, vcc_lo
	.loc	1 58 21                         ; attention_bwd.py:58:21 @[ attention_bwd.py:184:50 ]
	global_load_u16 v4, v[0:1], off
	.loc	1 73 19                         ; attention_bwd.py:73:19 @[ attention_bwd.py:184:50 ]
	v_add_co_u32 v0, vcc_lo, v179, s12
	s_delay_alu instid0(VALU_DEP_1) | instskip(SKIP_2) | instid1(VALU_DEP_1)
	v_add_co_ci_u32_e64 v1, null, s13, v180, vcc_lo
	.loc	1 58 21                         ; attention_bwd.py:58:21 @[ attention_bwd.py:184:50 ]
	global_load_u16 v5, v[0:1], off
	;; [unrolled: 11-line block ×3, first 2 shown]
	.loc	1 73 19                         ; attention_bwd.py:73:19 @[ attention_bwd.py:184:50 ]
	v_add_co_u32 v0, vcc_lo, v173, s12
	v_add_co_ci_u32_e64 v1, null, s13, v174, vcc_lo
	.loc	1 58 21                         ; attention_bwd.py:58:21 @[ attention_bwd.py:184:50 ]
	global_load_u16 v8, v[0:1], off
	.loc	1 48 21                         ; attention_bwd.py:48:21 @[ attention_bwd.py:184:50 ]
	v_add_co_u32 v0, vcc_lo, v171, s12
	s_delay_alu instid0(VALU_DEP_1)
	v_add_co_ci_u32_e64 v1, null, s13, v172, vcc_lo
	.loc	1 58 21                         ; attention_bwd.py:58:21 @[ attention_bwd.py:184:50 ]
	global_load_u16 v132, v[0:1], off
	.loc	1 51 24                         ; attention_bwd.py:51:24 @[ attention_bwd.py:184:50 ]
	s_clause 0x1                            ; 8-byte Folded Reload
	scratch_load_b32 v0, off, off offset:548
	scratch_load_b32 v1, off, off offset:620
	s_waitcnt vmcnt(1)
	v_add_co_u32 v0, vcc_lo, v0, s2
	s_waitcnt vmcnt(0)
	v_add_co_ci_u32_e64 v1, null, s3, v1, vcc_lo
	.loc	1 51 20 is_stmt 0               ; attention_bwd.py:51:20 @[ attention_bwd.py:184:50 ]
	s_clause 0x7
	global_load_b32 v209, v[0:1], off offset:64
	global_load_b32 v208, v[0:1], off offset:72
	;; [unrolled: 1-line block ×8, first 2 shown]
	.loc	1 64 25 is_stmt 1               ; attention_bwd.py:64:25 @[ attention_bwd.py:184:50 ]
	s_clause 0x1                            ; 8-byte Folded Reload
	scratch_load_b32 v0, off, off offset:580
	scratch_load_b32 v1, off, off offset:588
	s_waitcnt vmcnt(1)
	v_add_co_u32 v0, vcc_lo, v0, s2
	s_waitcnt vmcnt(0)
	v_add_co_ci_u32_e64 v1, null, s3, v1, vcc_lo
	.loc	1 64 21 is_stmt 0               ; attention_bwd.py:64:21 @[ attention_bwd.py:184:50 ]
	s_clause 0x7
	global_load_b32 v164, v[0:1], off offset:64
	global_load_b32 v163, v[0:1], off offset:72
	;; [unrolled: 1-line block ×8, first 2 shown]
	.loc	1 47 25 is_stmt 1               ; attention_bwd.py:47:25 @[ attention_bwd.py:184:50 ]
	v_add_co_u32 v171, vcc_lo, v171, s8
	s_delay_alu instid0(VALU_DEP_1) | instskip(SKIP_1) | instid1(VALU_DEP_1)
	v_add_co_ci_u32_e64 v172, null, s9, v172, vcc_lo
	v_add_co_u32 v173, vcc_lo, v173, s8
	v_add_co_ci_u32_e64 v174, null, s9, v174, vcc_lo
	v_add_co_u32 v175, vcc_lo, v175, s8
	s_delay_alu instid0(VALU_DEP_1) | instskip(SKIP_1) | instid1(VALU_DEP_1)
	v_add_co_ci_u32_e64 v176, null, s9, v176, vcc_lo
	v_add_co_u32 v177, vcc_lo, v177, s8
	v_add_co_ci_u32_e64 v178, null, s9, v178, vcc_lo
	;; [unrolled: 5-line block ×8, first 2 shown]
	s_add_u32 s2, s2, 64
	s_addc_u32 s3, s3, 0
	s_cmpk_lg_i32 s2, 0x1c0
	.loc	1 48 21                         ; attention_bwd.py:48:21 @[ attention_bwd.py:184:50 ]
	s_waitcnt vmcnt(0)
	s_waitcnt_vscnt null, 0x0
	s_barrier
	buffer_gl0_inv
	ds_store_b16 v255, v133
	ds_store_b16 v255, v155 offset:256
	ds_store_b16 v255, v156 offset:512
	;; [unrolled: 1-line block ×7, first 2 shown]
	.loc	1 58 21                         ; attention_bwd.py:58:21 @[ attention_bwd.py:184:50 ]
	ds_store_b16 v255, v2 offset:2048
	ds_store_b16 v255, v3 offset:2304
	;; [unrolled: 1-line block ×8, first 2 shown]
	.loc	1 47 25                         ; attention_bwd.py:47:25 @[ attention_bwd.py:184:50 ]
	s_cbranch_scc1 .LBB0_1
; %bb.2:
	.loc	1 0 25 is_stmt 0                ; attention_bwd.py:0:25
	s_clause 0x1                            ; 32-byte Folded Reload
	scratch_load_b128 v[105:108], off, off offset:4
	scratch_load_b128 v[109:112], off, off offset:20
	s_clause 0xd                            ; 224-byte Folded Spill
	scratch_store_b128 off, v[49:52], off offset:716
	scratch_store_b128 off, v[53:56], off offset:732
	;; [unrolled: 1-line block ×14, first 2 shown]
	s_mov_b32 s0, 0
	v_dual_mov_b32 v65, v210 :: v_dual_mov_b32 v66, v211
	.loc	1 52 24 is_stmt 1               ; attention_bwd.py:52:24 @[ attention_bwd.py:184:50 ]
	s_mov_b32 s7, s0
	s_mov_b32 s1, s0
	;; [unrolled: 1-line block ×7, first 2 shown]
	s_delay_alu instid0(SALU_CYCLE_1)
	v_dual_mov_b32 v152, s7 :: v_dual_mov_b32 v151, s6
	v_dual_mov_b32 v150, s5 :: v_dual_mov_b32 v149, s4
	;; [unrolled: 1-line block ×15, first 2 shown]
	v_mov_b32_e32 v114, 0
	v_dual_mov_b32 v134, v252 :: v_dual_mov_b32 v113, 0
	.loc	1 69 26                         ; attention_bwd.py:69:26 @[ attention_bwd.py:184:50 ]
	s_waitcnt vmcnt(0) lgkmcnt(0)
	s_waitcnt_vscnt null, 0x0
	s_barrier
	buffer_gl0_inv
	.loc	1 52 24                         ; attention_bwd.py:52:24 @[ attention_bwd.py:184:50 ]
	s_clause 0x1                            ; 32-byte Folded Reload
	scratch_load_b128 v[25:28], off, off offset:164
	scratch_load_b128 v[29:32], off, off offset:180
	.loc	1 48 21                         ; attention_bwd.py:48:21 @[ attention_bwd.py:184:50 ]
	ds_load_u16 v0, v240
	ds_load_u16 v1, v240 offset:64
	ds_load_u16 v2, v240 offset:128
	;; [unrolled: 1-line block ×15, first 2 shown]
	s_waitcnt lgkmcnt(15)
	ds_load_u16_d16_hi v0, v240 offset:32
	s_waitcnt lgkmcnt(15)
	ds_load_u16_d16_hi v1, v240 offset:96
	;; [unrolled: 2-line block ×16, first 2 shown]
	.loc	1 52 24                         ; attention_bwd.py:52:24 @[ attention_bwd.py:184:50 ]
	s_waitcnt vmcnt(0) lgkmcnt(8)
	v_wmma_f32_16x16x16_f16 v[165:172], v[0:7], v[25:32], v[145:152]
	s_clause 0x1                            ; 32-byte Folded Reload
	scratch_load_b128 v[25:28], off, off offset:196
	scratch_load_b128 v[29:32], off, off offset:212
	s_waitcnt vmcnt(0)
	v_wmma_f32_16x16x16_f16 v[173:180], v[0:7], v[25:32], v[145:152]
	s_clause 0x3                            ; 64-byte Folded Reload
	scratch_load_b128 v[0:3], off, off offset:132
	scratch_load_b128 v[4:7], off, off offset:148
	scratch_load_b128 v[25:28], off, off offset:68
	scratch_load_b128 v[29:32], off, off offset:84
	s_waitcnt vmcnt(2) lgkmcnt(0)
	v_wmma_f32_16x16x16_f16 v[165:172], v[137:144], v[0:7], v[165:172]
	s_clause 0x1                            ; 32-byte Folded Reload
	scratch_load_b128 v[0:3], off, off offset:100
	scratch_load_b128 v[4:7], off, off offset:116
	s_waitcnt vmcnt(0)
	v_wmma_f32_16x16x16_f16 v[173:180], v[137:144], v[0:7], v[173:180]
	.loc	1 48 21                         ; attention_bwd.py:48:21 @[ attention_bwd.py:184:50 ]
	ds_load_u16 v0, v240 offset:1024
	ds_load_u16 v1, v240 offset:1088
	;; [unrolled: 1-line block ×8, first 2 shown]
	s_waitcnt lgkmcnt(7)
	ds_load_u16_d16_hi v0, v240 offset:1056
	s_waitcnt lgkmcnt(7)
	ds_load_u16_d16_hi v1, v240 offset:1120
	;; [unrolled: 2-line block ×8, first 2 shown]
	.loc	1 52 24                         ; attention_bwd.py:52:24 @[ attention_bwd.py:184:50 ]
	s_waitcnt lgkmcnt(0)
	v_wmma_f32_16x16x16_f16 v[165:172], v[0:7], v[25:32], v[165:172]
	s_clause 0x1                            ; 32-byte Folded Reload
	scratch_load_b128 v[25:28], off, off offset:36
	scratch_load_b128 v[29:32], off, off offset:52
	s_waitcnt vmcnt(0)
	v_wmma_f32_16x16x16_f16 v[173:180], v[0:7], v[25:32], v[173:180]
	s_clause 0x1                            ; 32-byte Folded Reload
	scratch_load_b128 v[25:28], off, off offset:452
	scratch_load_b128 v[29:32], off, off offset:468
	.loc	1 48 21                         ; attention_bwd.py:48:21 @[ attention_bwd.py:184:50 ]
	ds_load_u16 v0, v240 offset:1536
	ds_load_u16 v1, v240 offset:1600
	;; [unrolled: 1-line block ×8, first 2 shown]
	s_waitcnt lgkmcnt(7)
	ds_load_u16_d16_hi v0, v240 offset:1568
	s_waitcnt lgkmcnt(7)
	ds_load_u16_d16_hi v1, v240 offset:1632
	;; [unrolled: 2-line block ×8, first 2 shown]
	.loc	1 52 24                         ; attention_bwd.py:52:24 @[ attention_bwd.py:184:50 ]
	s_waitcnt vmcnt(0) lgkmcnt(0)
	v_wmma_f32_16x16x16_f16 v[165:172], v[0:7], v[25:32], v[165:172]
	s_clause 0x1                            ; 32-byte Folded Reload
	scratch_load_b128 v[25:28], off, off offset:420
	scratch_load_b128 v[29:32], off, off offset:436
	.loc	1 53 32                         ; attention_bwd.py:53:32 @[ attention_bwd.py:184:50 ]
	v_sub_f32_e32 v154, v170, v204
	v_dual_sub_f32 v8, v165, v209 :: v_dual_sub_f32 v135, v167, v207
	v_dual_sub_f32 v132, v166, v208 :: v_dual_sub_f32 v153, v169, v205
	v_sub_f32_e32 v165, v172, v202
	s_delay_alu instid0(VALU_DEP_3) | instskip(NEXT) | instid1(VALU_DEP_2)
	.loc	1 53 26 is_stmt 0               ; attention_bwd.py:53:26 @[ attention_bwd.py:184:50 ]
	v_exp_f32_e32 v8, v8
	v_exp_f32_e32 v132, v132
	.loc	1 52 24 is_stmt 1               ; attention_bwd.py:52:24 @[ attention_bwd.py:184:50 ]
	s_waitcnt vmcnt(0)
	v_wmma_f32_16x16x16_f16 v[173:180], v[0:7], v[25:32], v[173:180]
	s_clause 0x1                            ; 32-byte Folded Reload
	scratch_load_b128 v[25:28], off, off offset:356
	scratch_load_b128 v[29:32], off, off offset:372
	.loc	1 66 24                         ; attention_bwd.py:66:24 @[ attention_bwd.py:184:50 ]
	ds_load_b128 v[0:3], v131 offset:2048
	ds_load_b128 v[4:7], v131 offset:2064
	.loc	1 53 32                         ; attention_bwd.py:53:32 @[ attention_bwd.py:184:50 ]
	v_sub_f32_e32 v136, v168, v206
	v_dual_sub_f32 v156, v171, v203 :: v_dual_sub_f32 v169, v176, v206
	v_dual_sub_f32 v166, v173, v209 :: v_dual_sub_f32 v171, v178, v204
	;; [unrolled: 1-line block ×3, first 2 shown]
	v_sub_f32_e32 v173, v180, v202
	.loc	1 53 26 is_stmt 0               ; attention_bwd.py:53:26 @[ attention_bwd.py:184:50 ]
	v_exp_f32_e32 v136, v136
	.loc	1 66 24 is_stmt 1               ; attention_bwd.py:66:24 @[ attention_bwd.py:184:50 ]
	s_waitcnt vmcnt(0) lgkmcnt(0)
	v_wmma_f32_16x16x16_f16 v[137:144], v[0:7], v[25:32], v[145:152]
	s_clause 0x1                            ; 32-byte Folded Reload
	scratch_load_b128 v[25:28], off, off offset:388
	scratch_load_b128 v[29:32], off, off offset:404
	s_waitcnt vmcnt(0)
	v_wmma_f32_16x16x16_f16 v[145:152], v[0:7], v[25:32], v[145:152]
	s_clause 0x1                            ; 32-byte Folded Reload
	scratch_load_b128 v[25:28], off, off offset:292
	scratch_load_b128 v[29:32], off, off offset:308
	ds_load_b128 v[0:3], v131 offset:2080
	ds_load_b128 v[4:7], v131 offset:2096
	s_waitcnt vmcnt(0) lgkmcnt(0)
	v_wmma_f32_16x16x16_f16 v[137:144], v[0:7], v[25:32], v[137:144]
	s_clause 0x1                            ; 32-byte Folded Reload
	scratch_load_b128 v[25:28], off, off offset:324
	scratch_load_b128 v[29:32], off, off offset:340
	s_waitcnt vmcnt(0)
	v_wmma_f32_16x16x16_f16 v[145:152], v[0:7], v[25:32], v[145:152]
	s_clause 0x1                            ; 32-byte Folded Reload
	scratch_load_b128 v[25:28], off, off offset:228
	scratch_load_b128 v[29:32], off, off offset:244
	ds_load_b128 v[0:3], v131 offset:2112
	ds_load_b128 v[4:7], v131 offset:2128
	s_waitcnt vmcnt(0) lgkmcnt(0)
	v_wmma_f32_16x16x16_f16 v[137:144], v[0:7], v[25:32], v[137:144]
	s_clause 0x1                            ; 32-byte Folded Reload
	scratch_load_b128 v[25:28], off, off offset:260
	scratch_load_b128 v[29:32], off, off offset:276
	s_waitcnt vmcnt(0)
	v_wmma_f32_16x16x16_f16 v[145:152], v[0:7], v[25:32], v[145:152]
	ds_load_b128 v[0:3], v131 offset:2144
	ds_load_b128 v[4:7], v131 offset:2160
	s_waitcnt lgkmcnt(0)
	v_wmma_f32_16x16x16_f16 v[137:144], v[0:7], v[241:248], v[137:144]
	v_wmma_f32_16x16x16_f16 v[145:152], v[0:7], v[226:233], v[145:152]
	.loc	1 53 32                         ; attention_bwd.py:53:32 @[ attention_bwd.py:184:50 ]
	v_sub_f32_e32 v170, v177, v205
	s_delay_alu instid0(VALU_DEP_3) | instskip(NEXT) | instid1(VALU_DEP_4)
	v_dual_sub_f32 v172, v179, v203 :: v_dual_sub_f32 v3, v140, v161
	.loc	1 67 26                         ; attention_bwd.py:67:26 @[ attention_bwd.py:184:50 ]
	v_dual_sub_f32 v0, v137, v164 :: v_dual_sub_f32 v5, v142, v159
	v_dual_sub_f32 v1, v138, v163 :: v_dual_sub_f32 v6, v143, v158
	;; [unrolled: 1-line block ×3, first 2 shown]
	scratch_load_b64 v[145:146], off, off offset:1636 ; 8-byte Folded Reload
	v_dual_sub_f32 v2, v139, v162 :: v_dual_sub_f32 v7, v144, v157
	v_sub_f32_e32 v144, v152, v157
	v_sub_f32_e32 v142, v150, v159
	v_dual_sub_f32 v140, v148, v161 :: v_dual_sub_f32 v143, v151, v158
	v_dual_sub_f32 v4, v141, v160 :: v_dual_sub_f32 v139, v147, v162
	.loc	1 53 26                         ; attention_bwd.py:53:26 @[ attention_bwd.py:184:50 ]
	s_waitcnt vmcnt(0)
	v_exp_f32_e32 v146, v167
	.loc	1 67 26                         ; attention_bwd.py:67:26 @[ attention_bwd.py:184:50 ]
	v_sub_f32_e32 v141, v149, v160
	.loc	1 53 26                         ; attention_bwd.py:53:26 @[ attention_bwd.py:184:50 ]
	v_exp_f32_e32 v147, v169
	v_exp_f32_e32 v149, v171
	;; [unrolled: 1-line block ×3, first 2 shown]
	v_mov_b32_e32 v152, v145
	s_delay_alu instid0(VALU_DEP_1) | instskip(SKIP_2) | instid1(VALU_DEP_3)
	.loc	1 47 25                         ; attention_bwd.py:47:25 @[ attention_bwd.py:184:50 ]
	v_or_b32_e32 v150, 0x7e, v152
	v_or_b32_e32 v145, 0x72, v152
	;; [unrolled: 1-line block ×3, first 2 shown]
	.loc	1 57 36                         ; attention_bwd.py:57:36 @[ attention_bwd.py:184:50 ]
	v_cmp_ge_i32_e64 s5, v150, v239
	v_cmp_ge_i32_e64 s6, v150, v252
	.loc	1 47 25                         ; attention_bwd.py:47:25 @[ attention_bwd.py:184:50 ]
	v_or_b32_e32 v150, 0x70, v152
	.loc	1 57 36                         ; attention_bwd.py:57:36 @[ attention_bwd.py:184:50 ]
	v_cmp_ge_i32_e32 vcc_lo, v145, v239
	v_cmp_ge_i32_e64 s0, v145, v252
	.loc	1 47 25                         ; attention_bwd.py:47:25 @[ attention_bwd.py:184:50 ]
	v_or_b32_e32 v145, 0x76, v152
	.loc	1 57 36                         ; attention_bwd.py:57:36 @[ attention_bwd.py:184:50 ]
	v_cmp_ge_i32_e64 s3, v148, v239
	v_cmp_ge_i32_e64 s7, v150, v239
	v_cndmask_b32_e32 v132, 0, v132, vcc_lo
	v_cmp_ge_i32_e64 s4, v148, v252
	v_cmp_ge_i32_e64 s1, v145, v239
	;; [unrolled: 1-line block ×3, first 2 shown]
	v_cndmask_b32_e64 v8, 0, v8, s7
	.loc	1 53 26                         ; attention_bwd.py:53:26 @[ attention_bwd.py:184:50 ]
	v_exp_f32_e32 v145, v154
	v_exp_f32_e32 v148, v165
	s_delay_alu instid0(VALU_DEP_1) | instskip(SKIP_2) | instid1(VALU_DEP_3)
	.loc	1 68 21                         ; attention_bwd.py:68:21 @[ attention_bwd.py:184:50 ]
	v_fma_mixlo_f16 v218, v8, v0, 0
	.loc	1 61 21                         ; attention_bwd.py:61:21 @[ attention_bwd.py:184:50 ]
	v_cvt_f16_f32_e32 v0, v8
	.loc	1 57 36                         ; attention_bwd.py:57:36 @[ attention_bwd.py:184:50 ]
	v_cndmask_b32_e64 v8, 0, v136, s1
	.loc	1 68 21                         ; attention_bwd.py:68:21 @[ attention_bwd.py:184:50 ]
	v_fma_mixhi_f16 v218, v132, v1, 0
	.loc	1 61 21                         ; attention_bwd.py:61:21 @[ attention_bwd.py:184:50 ]
	v_cvt_f16_f32_e64 v1, v132
	s_delay_alu instid0(VALU_DEP_1) | instskip(SKIP_2) | instid1(VALU_DEP_1)
	v_pack_b32_f16 v202, v0, v1
	.loc	1 53 26                         ; attention_bwd.py:53:26 @[ attention_bwd.py:184:50 ]
	v_exp_f32_e32 v0, v135
	.loc	1 47 25                         ; attention_bwd.py:47:25 @[ attention_bwd.py:184:50 ]
	v_or_b32_e32 v1, 0x74, v152
	.loc	1 57 36                         ; attention_bwd.py:57:36 @[ attention_bwd.py:184:50 ]
	v_cmp_ge_i32_e32 vcc_lo, v1, v239
	s_waitcnt_depctr depctr_va_vdst(0)
	v_cndmask_b32_e32 v0, 0, v0, vcc_lo
	s_delay_alu instid0(VALU_DEP_1) | instskip(SKIP_2) | instid1(VALU_DEP_3)
	.loc	1 68 21                         ; attention_bwd.py:68:21 @[ attention_bwd.py:184:50 ]
	v_fma_mixlo_f16 v220, v0, v2, 0
	.loc	1 61 21                         ; attention_bwd.py:61:21 @[ attention_bwd.py:184:50 ]
	v_cvt_f16_f32_e32 v0, v0
	v_cvt_f16_f32_e32 v2, v8
	.loc	1 68 21                         ; attention_bwd.py:68:21 @[ attention_bwd.py:184:50 ]
	v_fma_mixhi_f16 v220, v8, v3, 0
	.loc	1 57 36                         ; attention_bwd.py:57:36 @[ attention_bwd.py:184:50 ]
	v_cndmask_b32_e64 v3, 0, v145, s3
	s_delay_alu instid0(VALU_DEP_3) | instskip(SKIP_2) | instid1(VALU_DEP_1)
	.loc	1 61 21                         ; attention_bwd.py:61:21 @[ attention_bwd.py:184:50 ]
	v_pack_b32_f16 v204, v0, v2
	.loc	1 53 26                         ; attention_bwd.py:53:26 @[ attention_bwd.py:184:50 ]
	v_exp_f32_e32 v0, v153
	.loc	1 47 25                         ; attention_bwd.py:47:25 @[ attention_bwd.py:184:50 ]
	v_or_b32_e32 v2, 0x78, v152
	.loc	1 57 36                         ; attention_bwd.py:57:36 @[ attention_bwd.py:184:50 ]
	v_cmp_ge_i32_e32 vcc_lo, v2, v239
	s_waitcnt_depctr depctr_va_vdst(0)
	v_cndmask_b32_e32 v0, 0, v0, vcc_lo
	s_delay_alu instid0(VALU_DEP_1) | instskip(SKIP_2) | instid1(VALU_DEP_3)
	.loc	1 68 21                         ; attention_bwd.py:68:21 @[ attention_bwd.py:184:50 ]
	v_fma_mixlo_f16 v222, v0, v4, 0
	.loc	1 61 21                         ; attention_bwd.py:61:21 @[ attention_bwd.py:184:50 ]
	v_cvt_f16_f32_e32 v0, v0
	.loc	1 57 36                         ; attention_bwd.py:57:36 @[ attention_bwd.py:184:50 ]
	v_cndmask_b32_e64 v4, 0, v148, s5
	.loc	1 68 21                         ; attention_bwd.py:68:21 @[ attention_bwd.py:184:50 ]
	v_fma_mixhi_f16 v222, v3, v5, 0
	.loc	1 61 21                         ; attention_bwd.py:61:21 @[ attention_bwd.py:184:50 ]
	v_cvt_f16_f32_e32 v3, v3
	s_delay_alu instid0(VALU_DEP_1) | instskip(SKIP_2) | instid1(VALU_DEP_1)
	v_pack_b32_f16 v206, v0, v3
	.loc	1 53 26                         ; attention_bwd.py:53:26 @[ attention_bwd.py:184:50 ]
	v_exp_f32_e32 v0, v156
	.loc	1 47 25                         ; attention_bwd.py:47:25 @[ attention_bwd.py:184:50 ]
	v_or_b32_e32 v3, 0x7c, v152
	.loc	1 57 36                         ; attention_bwd.py:57:36 @[ attention_bwd.py:184:50 ]
	v_cmp_ge_i32_e32 vcc_lo, v3, v239
	s_waitcnt_depctr depctr_va_vdst(0)
	v_cndmask_b32_e32 v0, 0, v0, vcc_lo
	v_cmp_ge_i32_e32 vcc_lo, v150, v252
	s_delay_alu instid0(VALU_DEP_2) | instskip(SKIP_1) | instid1(VALU_DEP_2)
	.loc	1 68 21                         ; attention_bwd.py:68:21 @[ attention_bwd.py:184:50 ]
	v_fma_mixlo_f16 v224, v0, v6, 0
	.loc	1 61 21                         ; attention_bwd.py:61:21 @[ attention_bwd.py:184:50 ]
	v_cvt_f16_f32_e32 v0, v0
	.loc	1 68 21                         ; attention_bwd.py:68:21 @[ attention_bwd.py:184:50 ]
	v_fma_mixhi_f16 v224, v4, v7, 0
	.loc	1 61 21                         ; attention_bwd.py:61:21 @[ attention_bwd.py:184:50 ]
	v_cvt_f16_f32_e32 v4, v4
	s_delay_alu instid0(VALU_DEP_1) | instskip(SKIP_3) | instid1(SALU_CYCLE_1)
	v_pack_b32_f16 v208, v0, v4
	.loc	1 53 26                         ; attention_bwd.py:53:26 @[ attention_bwd.py:184:50 ]
	v_exp_f32_e32 v0, v166
	.loc	1 57 36                         ; attention_bwd.py:57:36 @[ attention_bwd.py:184:50 ]
	v_cndmask_b32_e64 v4, 0, v146, s0
	s_mov_b32 s0, 0x76543210
	.loc	1 61 21                         ; attention_bwd.py:61:21 @[ attention_bwd.py:184:50 ]
	v_permlanex16_b32 v203, v202, s0, 0xfedcba98 op_sel:[1,0]
	v_permlanex16_b32 v205, v204, s0, 0xfedcba98 op_sel:[1,0]
	;; [unrolled: 1-line block ×4, first 2 shown]
	.loc	1 68 21                         ; attention_bwd.py:68:21 @[ attention_bwd.py:184:50 ]
	v_permlanex16_b32 v219, v218, s0, 0xfedcba98 op_sel:[1,0]
	v_permlanex16_b32 v221, v220, s0, 0xfedcba98 op_sel:[1,0]
	s_delay_alu instid0(TRANS32_DEP_1)
	.loc	1 57 36                         ; attention_bwd.py:57:36 @[ attention_bwd.py:184:50 ]
	v_cndmask_b32_e32 v0, 0, v0, vcc_lo
	v_cmp_ge_i32_e32 vcc_lo, v1, v252
	v_cndmask_b32_e64 v1, 0, v147, s2
.Ltmp52:
	.loc	1 188 19                        ; attention_bwd.py:188:19
	s_add_i32 s2, s14, 0x80
.Ltmp53:
	.loc	1 68 21                         ; attention_bwd.py:68:21 @[ attention_bwd.py:184:50 ]
	v_permlanex16_b32 v223, v222, s0, 0xfedcba98 op_sel:[1,0]
	v_fma_mixlo_f16 v226, v0, v137, 0
	.loc	1 61 21                         ; attention_bwd.py:61:21 @[ attention_bwd.py:184:50 ]
	v_cvt_f16_f32_e32 v0, v0
.Ltmp54:
	.loc	1 191 25                        ; attention_bwd.py:191:25
	s_sub_i32 s24, s41, s2
.Ltmp55:
	.loc	1 68 21                         ; attention_bwd.py:68:21 @[ attention_bwd.py:184:50 ]
	v_permlanex16_b32 v225, v224, s0, 0xfedcba98 op_sel:[1,0]
.Ltmp56:
	.loc	1 47 25                         ; attention_bwd.py:47:25 @[ attention_bwd.py:200:26 ]
	s_cmp_gt_i32 s24, 31
.Ltmp57:
	.loc	1 68 21                         ; attention_bwd.py:68:21 @[ attention_bwd.py:184:50 ]
	v_fma_mixhi_f16 v226, v4, v138, 0
	.loc	1 61 21                         ; attention_bwd.py:61:21 @[ attention_bwd.py:184:50 ]
	v_cvt_f16_f32_e32 v4, v4
.Ltmp58:
	.loc	1 47 25                         ; attention_bwd.py:47:25 @[ attention_bwd.py:200:26 ]
	s_cselect_b32 s3, -1, 0
	s_cmp_lt_i32 s24, 32
	s_delay_alu instid0(VALU_DEP_2) | instskip(NEXT) | instid1(VALU_DEP_2)
.Ltmp59:
	.loc	1 68 21                         ; attention_bwd.py:68:21 @[ attention_bwd.py:184:50 ]
	v_permlanex16_b32 v227, v226, s0, 0xfedcba98 op_sel:[1,0]
	.loc	1 61 21                         ; attention_bwd.py:61:21 @[ attention_bwd.py:184:50 ]
	v_pack_b32_f16 v210, v0, v4
	scratch_load_b32 v4, off, off offset:1616 ; 4-byte Folded Reload
	.loc	1 53 26                         ; attention_bwd.py:53:26 @[ attention_bwd.py:184:50 ]
	v_exp_f32_e32 v0, v168
	.loc	1 61 21                         ; attention_bwd.py:61:21 @[ attention_bwd.py:184:50 ]
	v_permlanex16_b32 v211, v210, s0, 0xfedcba98 op_sel:[1,0]
	.loc	1 57 36                         ; attention_bwd.py:57:36 @[ attention_bwd.py:184:50 ]
	s_waitcnt_depctr depctr_va_vdst(0)
	v_cndmask_b32_e32 v0, 0, v0, vcc_lo
	v_cmp_ge_i32_e32 vcc_lo, v2, v252
	s_delay_alu instid0(VALU_DEP_2) | instskip(SKIP_1) | instid1(VALU_DEP_2)
	.loc	1 68 21                         ; attention_bwd.py:68:21 @[ attention_bwd.py:184:50 ]
	v_fma_mixlo_f16 v228, v0, v139, 0
	.loc	1 61 21                         ; attention_bwd.py:61:21 @[ attention_bwd.py:184:50 ]
	v_cvt_f16_f32_e32 v0, v0
	.loc	1 68 21                         ; attention_bwd.py:68:21 @[ attention_bwd.py:184:50 ]
	v_fma_mixhi_f16 v228, v1, v140, 0
	.loc	1 61 21                         ; attention_bwd.py:61:21 @[ attention_bwd.py:184:50 ]
	v_cvt_f16_f32_e32 v1, v1
	s_delay_alu instid0(VALU_DEP_2) | instskip(NEXT) | instid1(VALU_DEP_2)
	.loc	1 68 21                         ; attention_bwd.py:68:21 @[ attention_bwd.py:184:50 ]
	v_permlanex16_b32 v229, v228, s0, 0xfedcba98 op_sel:[1,0]
	.loc	1 61 21                         ; attention_bwd.py:61:21 @[ attention_bwd.py:184:50 ]
	v_pack_b32_f16 v212, v0, v1
	.loc	1 53 26                         ; attention_bwd.py:53:26 @[ attention_bwd.py:184:50 ]
	v_exp_f32_e32 v0, v170
	.loc	1 57 36                         ; attention_bwd.py:57:36 @[ attention_bwd.py:184:50 ]
	v_cndmask_b32_e64 v1, 0, v149, s4
	s_delay_alu instid0(VALU_DEP_2) | instskip(SKIP_3) | instid1(VALU_DEP_2)
	.loc	1 61 21                         ; attention_bwd.py:61:21 @[ attention_bwd.py:184:50 ]
	v_permlanex16_b32 v213, v212, s0, 0xfedcba98 op_sel:[1,0]
	.loc	1 57 36                         ; attention_bwd.py:57:36 @[ attention_bwd.py:184:50 ]
	s_waitcnt_depctr depctr_va_vdst(0)
	v_cndmask_b32_e32 v0, 0, v0, vcc_lo
	v_cmp_ge_i32_e32 vcc_lo, v3, v252
	.loc	1 68 21                         ; attention_bwd.py:68:21 @[ attention_bwd.py:184:50 ]
	v_fma_mixlo_f16 v230, v0, v141, 0
	.loc	1 61 21                         ; attention_bwd.py:61:21 @[ attention_bwd.py:184:50 ]
	v_cvt_f16_f32_e32 v0, v0
	s_delay_alu instid0(VALU_DEP_2) | instskip(SKIP_1) | instid1(VALU_DEP_2)
	.loc	1 68 21                         ; attention_bwd.py:68:21 @[ attention_bwd.py:184:50 ]
	v_fma_mixhi_f16 v230, v1, v142, 0
	.loc	1 61 21                         ; attention_bwd.py:61:21 @[ attention_bwd.py:184:50 ]
	v_cvt_f16_f32_e32 v1, v1
	.loc	1 68 21                         ; attention_bwd.py:68:21 @[ attention_bwd.py:184:50 ]
	v_permlanex16_b32 v231, v230, s0, 0xfedcba98 op_sel:[1,0]
	s_delay_alu instid0(VALU_DEP_2) | instskip(SKIP_2) | instid1(VALU_DEP_2)
	.loc	1 61 21                         ; attention_bwd.py:61:21 @[ attention_bwd.py:184:50 ]
	v_pack_b32_f16 v214, v0, v1
	.loc	1 53 26                         ; attention_bwd.py:53:26 @[ attention_bwd.py:184:50 ]
	v_exp_f32_e32 v0, v172
	.loc	1 57 36                         ; attention_bwd.py:57:36 @[ attention_bwd.py:184:50 ]
	v_cndmask_b32_e64 v1, 0, v151, s6
	.loc	1 61 21                         ; attention_bwd.py:61:21 @[ attention_bwd.py:184:50 ]
	v_permlanex16_b32 v215, v214, s0, 0xfedcba98 op_sel:[1,0]
	.loc	1 57 36                         ; attention_bwd.py:57:36 @[ attention_bwd.py:184:50 ]
	s_waitcnt_depctr depctr_va_vdst(0)
	v_cndmask_b32_e32 v0, 0, v0, vcc_lo
	s_delay_alu instid0(VALU_DEP_1) | instskip(SKIP_1) | instid1(VALU_DEP_2)
	.loc	1 68 21                         ; attention_bwd.py:68:21 @[ attention_bwd.py:184:50 ]
	v_fma_mixlo_f16 v232, v0, v143, 0
	.loc	1 61 21                         ; attention_bwd.py:61:21 @[ attention_bwd.py:184:50 ]
	v_cvt_f16_f32_e32 v0, v0
	.loc	1 68 21                         ; attention_bwd.py:68:21 @[ attention_bwd.py:184:50 ]
	v_fma_mixhi_f16 v232, v1, v144, 0
	.loc	1 61 21                         ; attention_bwd.py:61:21 @[ attention_bwd.py:184:50 ]
	v_cvt_f16_f32_e32 v1, v1
	s_delay_alu instid0(VALU_DEP_1) | instskip(NEXT) | instid1(VALU_DEP_1)
	v_pack_b32_f16 v216, v0, v1
	v_permlanex16_b32 v217, v216, s0, 0xfedcba98 op_sel:[1,0]
.Ltmp60:
	.loc	1 38 36                         ; attention_bwd.py:38:36 @[ attention_bwd.py:200:26 ]
	s_waitcnt vmcnt(0)
	v_and_b32_e32 v238, 31, v4
	s_delay_alu instid0(VALU_DEP_1) | instskip(NEXT) | instid1(VALU_DEP_1)
	.loc	1 38 23 is_stmt 0               ; attention_bwd.py:38:23 @[ attention_bwd.py:200:26 ]
	v_or_b32_e32 v0, s2, v238
	.loc	1 41 36 is_stmt 1               ; attention_bwd.py:41:36 @[ attention_bwd.py:200:26 ]
	v_mul_lo_u32 v0, s10, v0
	s_delay_alu instid0(VALU_DEP_1) | instskip(NEXT) | instid1(VALU_DEP_1)
	.loc	1 41 18 is_stmt 0               ; attention_bwd.py:41:18 @[ attention_bwd.py:200:26 ]
	v_ashrrev_i32_e32 v1, 31, v0
	v_lshlrev_b64 v[0:1], 1, v[0:1]
	s_delay_alu instid0(VALU_DEP_1)
	v_add_co_u32 v139, vcc_lo, s49, v0
.Ltmp61:
	.loc	1 41 56                         ; attention_bwd.py:41:56 @[ attention_bwd.py:184:50 ]
	scratch_load_b32 v0, off, off offset:1836 ; 4-byte Folded Reload
.Ltmp62:
	.loc	1 41 18                         ; attention_bwd.py:41:18 @[ attention_bwd.py:200:26 ]
	v_add_co_ci_u32_e64 v140, null, s50, v1, vcc_lo
.Ltmp63:
	.loc	1 68 21 is_stmt 1               ; attention_bwd.py:68:21 @[ attention_bwd.py:184:50 ]
	v_permlanex16_b32 v1, v232, s0, 0xfedcba98 op_sel:[1,0]
	.loc	1 41 56                         ; attention_bwd.py:41:56 @[ attention_bwd.py:184:50 ]
	s_waitcnt vmcnt(0)
	v_lshrrev_b32_e32 v0, 5, v0
	s_delay_alu instid0(VALU_DEP_1) | instskip(NEXT) | instid1(VALU_DEP_1)
	.loc	1 41 67 is_stmt 0               ; attention_bwd.py:41:67 @[ attention_bwd.py:184:50 ]
	v_mul_lo_u32 v137, s11, v0
.Ltmp64:
	.loc	1 41 49                         ; attention_bwd.py:41:49 @[ attention_bwd.py:200:26 ]
	v_ashrrev_i32_e32 v138, 31, v137
	s_delay_alu instid0(VALU_DEP_1)
	v_lshlrev_b64 v[132:133], 1, v[137:138]
	.loc	1 48 21 is_stmt 1               ; attention_bwd.py:48:21 @[ attention_bwd.py:200:26 ]
	s_cbranch_scc1 .LBB0_4
; %bb.3:
	.loc	1 0 21 is_stmt 0                ; attention_bwd.py:0:21
	s_delay_alu instid0(VALU_DEP_1) | instskip(NEXT) | instid1(VALU_DEP_1)
	.loc	1 41 49 is_stmt 1               ; attention_bwd.py:41:49 @[ attention_bwd.py:200:26 ]
	v_add_co_u32 v2, vcc_lo, v139, v132
	v_add_co_ci_u32_e64 v3, null, v140, v133, vcc_lo
	.loc	1 48 21                         ; attention_bwd.py:48:21 @[ attention_bwd.py:200:26 ]
	global_load_u16 v114, v[2:3], off
.Ltmp65:
.LBB0_4:
	.loc	1 0 21 is_stmt 0                ; attention_bwd.py:0:21
	scratch_load_b64 v[127:128], off, off offset:1864 ; 8-byte Folded Reload
	.loc	1 171 69 is_stmt 1              ; attention_bwd.py:171:69
	s_lshl_b32 s1, s11, 2
.Ltmp66:
	.loc	1 48 21                         ; attention_bwd.py:48:21 @[ attention_bwd.py:200:26 ]
	v_cndmask_b32_e64 v0, 0, 1, s3
.Ltmp67:
	.loc	1 41 67                         ; attention_bwd.py:41:67 @[ attention_bwd.py:184:50 ]
	v_add_nc_u32_e32 v2, s1, v137
	v_bfe_u32 v233, v4, 4, 1
	v_mov_b32_e32 v130, v251
.Ltmp68:
	.loc	1 48 21                         ; attention_bwd.py:48:21 @[ attention_bwd.py:200:26 ]
	s_and_not1_b32 vcc_lo, exec_lo, s3
	v_cmp_ne_u32_e64 s0, 1, v0
	.loc	1 41 49                         ; attention_bwd.py:41:49 @[ attention_bwd.py:200:26 ]
	v_ashrrev_i32_e32 v3, 31, v2
	s_delay_alu instid0(VALU_DEP_1)
	v_lshlrev_b64 v[135:136], 1, v[2:3]
	.loc	1 48 21                         ; attention_bwd.py:48:21 @[ attention_bwd.py:200:26 ]
	s_cbranch_vccnz .LBB0_6
; %bb.5:
	.loc	1 0 21 is_stmt 0                ; attention_bwd.py:0:21
	s_delay_alu instid0(VALU_DEP_1) | instskip(NEXT) | instid1(VALU_DEP_1)
	.loc	1 41 49 is_stmt 1               ; attention_bwd.py:41:49 @[ attention_bwd.py:200:26 ]
	v_add_co_u32 v2, vcc_lo, v139, v135
	v_add_co_ci_u32_e64 v3, null, v140, v136, vcc_lo
	.loc	1 48 21                         ; attention_bwd.py:48:21 @[ attention_bwd.py:200:26 ]
	global_load_u16 v113, v[2:3], off
.LBB0_6:
	.loc	1 0 21 is_stmt 0                ; attention_bwd.py:0:21
	v_dual_mov_b32 v115, 0 :: v_dual_add_nc_u32 v2, s56, v137
	v_mov_b32_e32 v116, 0
	.loc	1 48 21                         ; attention_bwd.py:48:21 @[ attention_bwd.py:200:26 ]
	s_and_b32 vcc_lo, exec_lo, s0
	s_delay_alu instid0(VALU_DEP_2) | instskip(NEXT) | instid1(VALU_DEP_1)
	.loc	1 41 49 is_stmt 1               ; attention_bwd.py:41:49 @[ attention_bwd.py:200:26 ]
	v_ashrrev_i32_e32 v3, 31, v2
	v_lshlrev_b64 v[234:235], 1, v[2:3]
	.loc	1 48 21                         ; attention_bwd.py:48:21 @[ attention_bwd.py:200:26 ]
	s_cbranch_vccnz .LBB0_8
; %bb.7:
	.loc	1 0 21 is_stmt 0                ; attention_bwd.py:0:21
	s_delay_alu instid0(VALU_DEP_1) | instskip(NEXT) | instid1(VALU_DEP_1)
	.loc	1 41 49 is_stmt 1               ; attention_bwd.py:41:49 @[ attention_bwd.py:200:26 ]
	v_add_co_u32 v2, vcc_lo, v139, v234
	v_add_co_ci_u32_e64 v3, null, v140, v235, vcc_lo
	.loc	1 48 21                         ; attention_bwd.py:48:21 @[ attention_bwd.py:200:26 ]
	global_load_u16 v116, v[2:3], off
.Ltmp69:
.LBB0_8:
	.loc	1 171 69                        ; attention_bwd.py:171:69
	s_mul_i32 s6, s11, 12
.Ltmp70:
	.loc	1 48 21                         ; attention_bwd.py:48:21 @[ attention_bwd.py:200:26 ]
	s_and_b32 vcc_lo, exec_lo, s0
.Ltmp71:
	.loc	1 41 67                         ; attention_bwd.py:41:67 @[ attention_bwd.py:184:50 ]
	v_add_nc_u32_e32 v2, s6, v137
	s_delay_alu instid0(VALU_DEP_1) | instskip(NEXT) | instid1(VALU_DEP_1)
.Ltmp72:
	.loc	1 41 49 is_stmt 0               ; attention_bwd.py:41:49 @[ attention_bwd.py:200:26 ]
	v_ashrrev_i32_e32 v3, 31, v2
	v_lshlrev_b64 v[236:237], 1, v[2:3]
	.loc	1 48 21 is_stmt 1               ; attention_bwd.py:48:21 @[ attention_bwd.py:200:26 ]
	s_cbranch_vccnz .LBB0_10
; %bb.9:
	.loc	1 0 21 is_stmt 0                ; attention_bwd.py:0:21
	s_delay_alu instid0(VALU_DEP_1) | instskip(NEXT) | instid1(VALU_DEP_1)
	.loc	1 41 49 is_stmt 1               ; attention_bwd.py:41:49 @[ attention_bwd.py:200:26 ]
	v_add_co_u32 v2, vcc_lo, v139, v236
	v_add_co_ci_u32_e64 v3, null, v140, v237, vcc_lo
	.loc	1 48 21                         ; attention_bwd.py:48:21 @[ attention_bwd.py:200:26 ]
	global_load_u16 v115, v[2:3], off
.LBB0_10:
	.loc	1 0 21 is_stmt 0                ; attention_bwd.py:0:21
	v_dual_mov_b32 v117, 0 :: v_dual_add_nc_u32 v2, s55, v137
	v_mov_b32_e32 v118, 0
	.loc	1 48 21                         ; attention_bwd.py:48:21 @[ attention_bwd.py:200:26 ]
	s_and_b32 vcc_lo, exec_lo, s0
	s_delay_alu instid0(VALU_DEP_2) | instskip(NEXT) | instid1(VALU_DEP_1)
	.loc	1 41 49 is_stmt 1               ; attention_bwd.py:41:49 @[ attention_bwd.py:200:26 ]
	v_ashrrev_i32_e32 v3, 31, v2
	v_lshlrev_b64 v[241:242], 1, v[2:3]
	.loc	1 48 21                         ; attention_bwd.py:48:21 @[ attention_bwd.py:200:26 ]
	s_cbranch_vccnz .LBB0_12
; %bb.11:
	.loc	1 0 21 is_stmt 0                ; attention_bwd.py:0:21
	s_delay_alu instid0(VALU_DEP_1) | instskip(NEXT) | instid1(VALU_DEP_1)
	.loc	1 41 49 is_stmt 1               ; attention_bwd.py:41:49 @[ attention_bwd.py:200:26 ]
	v_add_co_u32 v2, vcc_lo, v139, v241
	v_add_co_ci_u32_e64 v3, null, v140, v242, vcc_lo
	.loc	1 48 21                         ; attention_bwd.py:48:21 @[ attention_bwd.py:200:26 ]
	global_load_u16 v118, v[2:3], off
.Ltmp73:
.LBB0_12:
	.loc	1 171 69                        ; attention_bwd.py:171:69
	s_mul_i32 s7, s11, 20
.Ltmp74:
	.loc	1 48 21                         ; attention_bwd.py:48:21 @[ attention_bwd.py:200:26 ]
	s_and_b32 vcc_lo, exec_lo, s0
.Ltmp75:
	.loc	1 41 67                         ; attention_bwd.py:41:67 @[ attention_bwd.py:184:50 ]
	v_add_nc_u32_e32 v2, s7, v137
	s_delay_alu instid0(VALU_DEP_1) | instskip(NEXT) | instid1(VALU_DEP_1)
.Ltmp76:
	.loc	1 41 49 is_stmt 0               ; attention_bwd.py:41:49 @[ attention_bwd.py:200:26 ]
	v_ashrrev_i32_e32 v3, 31, v2
	v_lshlrev_b64 v[243:244], 1, v[2:3]
	.loc	1 48 21 is_stmt 1               ; attention_bwd.py:48:21 @[ attention_bwd.py:200:26 ]
	s_cbranch_vccnz .LBB0_14
; %bb.13:
	.loc	1 0 21 is_stmt 0                ; attention_bwd.py:0:21
	s_delay_alu instid0(VALU_DEP_1) | instskip(NEXT) | instid1(VALU_DEP_1)
	.loc	1 41 49 is_stmt 1               ; attention_bwd.py:41:49 @[ attention_bwd.py:200:26 ]
	v_add_co_u32 v2, vcc_lo, v139, v243
	v_add_co_ci_u32_e64 v3, null, v140, v244, vcc_lo
	.loc	1 48 21                         ; attention_bwd.py:48:21 @[ attention_bwd.py:200:26 ]
	global_load_u16 v117, v[2:3], off
.LBB0_14:
	.loc	1 0 21 is_stmt 0                ; attention_bwd.py:0:21
	v_dual_mov_b32 v119, 0 :: v_dual_add_nc_u32 v2, s54, v137
	v_mov_b32_e32 v120, 0
	.loc	1 48 21                         ; attention_bwd.py:48:21 @[ attention_bwd.py:200:26 ]
	s_and_b32 vcc_lo, exec_lo, s0
	s_delay_alu instid0(VALU_DEP_2) | instskip(NEXT) | instid1(VALU_DEP_1)
	.loc	1 41 49 is_stmt 1               ; attention_bwd.py:41:49 @[ attention_bwd.py:200:26 ]
	v_ashrrev_i32_e32 v3, 31, v2
	v_lshlrev_b64 v[245:246], 1, v[2:3]
	.loc	1 48 21                         ; attention_bwd.py:48:21 @[ attention_bwd.py:200:26 ]
	s_cbranch_vccnz .LBB0_16
; %bb.15:
	.loc	1 0 21 is_stmt 0                ; attention_bwd.py:0:21
	s_delay_alu instid0(VALU_DEP_1) | instskip(NEXT) | instid1(VALU_DEP_1)
	.loc	1 41 49 is_stmt 1               ; attention_bwd.py:41:49 @[ attention_bwd.py:200:26 ]
	v_add_co_u32 v2, vcc_lo, v139, v245
	v_add_co_ci_u32_e64 v3, null, v140, v246, vcc_lo
	.loc	1 48 21                         ; attention_bwd.py:48:21 @[ attention_bwd.py:200:26 ]
	global_load_u16 v120, v[2:3], off
.Ltmp77:
.LBB0_16:
	.loc	1 171 69                        ; attention_bwd.py:171:69
	s_mul_i32 s41, s11, 28
.Ltmp78:
	.loc	1 48 21                         ; attention_bwd.py:48:21 @[ attention_bwd.py:200:26 ]
	s_and_b32 vcc_lo, exec_lo, s0
.Ltmp79:
	.loc	1 41 67                         ; attention_bwd.py:41:67 @[ attention_bwd.py:184:50 ]
	v_add_nc_u32_e32 v2, s41, v137
	s_delay_alu instid0(VALU_DEP_1) | instskip(NEXT) | instid1(VALU_DEP_1)
.Ltmp80:
	.loc	1 41 49 is_stmt 0               ; attention_bwd.py:41:49 @[ attention_bwd.py:200:26 ]
	v_ashrrev_i32_e32 v3, 31, v2
	v_lshlrev_b64 v[2:3], 1, v[2:3]
	.loc	1 48 21 is_stmt 1               ; attention_bwd.py:48:21 @[ attention_bwd.py:200:26 ]
	scratch_store_b64 off, v[2:3], off offset:1644 ; 8-byte Folded Spill
	s_cbranch_vccnz .LBB0_18
; %bb.17:
	.loc	1 0 21 is_stmt 0                ; attention_bwd.py:0:21
	scratch_load_b64 v[2:3], off, off offset:1644 ; 8-byte Folded Reload
	.loc	1 41 49 is_stmt 1               ; attention_bwd.py:41:49 @[ attention_bwd.py:200:26 ]
	s_waitcnt vmcnt(0)
	v_add_co_u32 v2, vcc_lo, v139, v2
	s_delay_alu instid0(VALU_DEP_1)
	v_add_co_ci_u32_e64 v3, null, v140, v3, vcc_lo
	.loc	1 48 21                         ; attention_bwd.py:48:21 @[ attention_bwd.py:200:26 ]
	global_load_u16 v119, v[2:3], off
.LBB0_18:
	.loc	1 0 21 is_stmt 0                ; attention_bwd.py:0:21
	v_dual_mov_b32 v121, 0 :: v_dual_add_nc_u32 v2, s53, v137
	v_mov_b32_e32 v122, 0
	.loc	1 48 21                         ; attention_bwd.py:48:21 @[ attention_bwd.py:200:26 ]
	s_and_b32 vcc_lo, exec_lo, s0
	s_delay_alu instid0(VALU_DEP_2) | instskip(NEXT) | instid1(VALU_DEP_1)
	.loc	1 41 49 is_stmt 1               ; attention_bwd.py:41:49 @[ attention_bwd.py:200:26 ]
	v_ashrrev_i32_e32 v3, 31, v2
	v_lshlrev_b64 v[2:3], 1, v[2:3]
	scratch_store_b64 off, v[2:3], off offset:1652 ; 8-byte Folded Spill
	.loc	1 48 21                         ; attention_bwd.py:48:21 @[ attention_bwd.py:200:26 ]
	s_cbranch_vccnz .LBB0_20
; %bb.19:
	.loc	1 0 21 is_stmt 0                ; attention_bwd.py:0:21
	scratch_load_b64 v[2:3], off, off offset:1652 ; 8-byte Folded Reload
	.loc	1 41 49 is_stmt 1               ; attention_bwd.py:41:49 @[ attention_bwd.py:200:26 ]
	s_waitcnt vmcnt(0)
	v_add_co_u32 v2, vcc_lo, v139, v2
	s_delay_alu instid0(VALU_DEP_1)
	v_add_co_ci_u32_e64 v3, null, v140, v3, vcc_lo
	.loc	1 48 21                         ; attention_bwd.py:48:21 @[ attention_bwd.py:200:26 ]
	global_load_u16 v122, v[2:3], off
.Ltmp81:
.LBB0_20:
	.loc	1 171 69                        ; attention_bwd.py:171:69
	s_mul_i32 s58, s11, 36
.Ltmp82:
	.loc	1 48 21                         ; attention_bwd.py:48:21 @[ attention_bwd.py:200:26 ]
	s_and_b32 vcc_lo, exec_lo, s0
.Ltmp83:
	.loc	1 41 67                         ; attention_bwd.py:41:67 @[ attention_bwd.py:184:50 ]
	v_add_nc_u32_e32 v2, s58, v137
	s_delay_alu instid0(VALU_DEP_1) | instskip(NEXT) | instid1(VALU_DEP_1)
.Ltmp84:
	.loc	1 41 49 is_stmt 0               ; attention_bwd.py:41:49 @[ attention_bwd.py:200:26 ]
	v_ashrrev_i32_e32 v3, 31, v2
	v_lshlrev_b64 v[2:3], 1, v[2:3]
	.loc	1 48 21 is_stmt 1               ; attention_bwd.py:48:21 @[ attention_bwd.py:200:26 ]
	scratch_store_b64 off, v[2:3], off offset:1660 ; 8-byte Folded Spill
	s_cbranch_vccnz .LBB0_22
; %bb.21:
	.loc	1 0 21 is_stmt 0                ; attention_bwd.py:0:21
	scratch_load_b64 v[2:3], off, off offset:1660 ; 8-byte Folded Reload
	.loc	1 41 49 is_stmt 1               ; attention_bwd.py:41:49 @[ attention_bwd.py:200:26 ]
	s_waitcnt vmcnt(0)
	v_add_co_u32 v2, vcc_lo, v139, v2
	s_delay_alu instid0(VALU_DEP_1)
	v_add_co_ci_u32_e64 v3, null, v140, v3, vcc_lo
	.loc	1 48 21                         ; attention_bwd.py:48:21 @[ attention_bwd.py:200:26 ]
	global_load_u16 v121, v[2:3], off
.LBB0_22:
	.loc	1 0 21 is_stmt 0                ; attention_bwd.py:0:21
	v_dual_mov_b32 v123, 0 :: v_dual_add_nc_u32 v2, s52, v137
	v_mov_b32_e32 v124, 0
	.loc	1 48 21                         ; attention_bwd.py:48:21 @[ attention_bwd.py:200:26 ]
	s_and_b32 vcc_lo, exec_lo, s0
	s_delay_alu instid0(VALU_DEP_2) | instskip(NEXT) | instid1(VALU_DEP_1)
	.loc	1 41 49 is_stmt 1               ; attention_bwd.py:41:49 @[ attention_bwd.py:200:26 ]
	v_ashrrev_i32_e32 v3, 31, v2
	v_lshlrev_b64 v[2:3], 1, v[2:3]
	scratch_store_b64 off, v[2:3], off offset:1668 ; 8-byte Folded Spill
	.loc	1 48 21                         ; attention_bwd.py:48:21 @[ attention_bwd.py:200:26 ]
	s_cbranch_vccnz .LBB0_24
; %bb.23:
	.loc	1 0 21 is_stmt 0                ; attention_bwd.py:0:21
	scratch_load_b64 v[2:3], off, off offset:1668 ; 8-byte Folded Reload
	.loc	1 41 49 is_stmt 1               ; attention_bwd.py:41:49 @[ attention_bwd.py:200:26 ]
	s_waitcnt vmcnt(0)
	v_add_co_u32 v2, vcc_lo, v139, v2
	s_delay_alu instid0(VALU_DEP_1)
	v_add_co_ci_u32_e64 v3, null, v140, v3, vcc_lo
	.loc	1 48 21                         ; attention_bwd.py:48:21 @[ attention_bwd.py:200:26 ]
	global_load_u16 v124, v[2:3], off
.Ltmp85:
.LBB0_24:
	.loc	1 171 69                        ; attention_bwd.py:171:69
	s_mul_i32 s59, s11, 44
.Ltmp86:
	.loc	1 48 21                         ; attention_bwd.py:48:21 @[ attention_bwd.py:200:26 ]
	s_and_b32 vcc_lo, exec_lo, s0
.Ltmp87:
	.loc	1 41 67                         ; attention_bwd.py:41:67 @[ attention_bwd.py:184:50 ]
	v_add_nc_u32_e32 v2, s59, v137
	s_delay_alu instid0(VALU_DEP_1) | instskip(NEXT) | instid1(VALU_DEP_1)
.Ltmp88:
	.loc	1 41 49 is_stmt 0               ; attention_bwd.py:41:49 @[ attention_bwd.py:200:26 ]
	v_ashrrev_i32_e32 v3, 31, v2
	v_lshlrev_b64 v[2:3], 1, v[2:3]
	.loc	1 48 21 is_stmt 1               ; attention_bwd.py:48:21 @[ attention_bwd.py:200:26 ]
	scratch_store_b64 off, v[2:3], off offset:1676 ; 8-byte Folded Spill
	s_cbranch_vccnz .LBB0_26
; %bb.25:
	.loc	1 0 21 is_stmt 0                ; attention_bwd.py:0:21
	scratch_load_b64 v[2:3], off, off offset:1676 ; 8-byte Folded Reload
	.loc	1 41 49 is_stmt 1               ; attention_bwd.py:41:49 @[ attention_bwd.py:200:26 ]
	s_waitcnt vmcnt(0)
	v_add_co_u32 v2, vcc_lo, v139, v2
	s_delay_alu instid0(VALU_DEP_1)
	v_add_co_ci_u32_e64 v3, null, v140, v3, vcc_lo
	.loc	1 48 21                         ; attention_bwd.py:48:21 @[ attention_bwd.py:200:26 ]
	global_load_u16 v123, v[2:3], off
.LBB0_26:
	.loc	1 0 21 is_stmt 0                ; attention_bwd.py:0:21
	v_dual_mov_b32 v125, 0 :: v_dual_add_nc_u32 v2, s51, v137
	v_mov_b32_e32 v126, 0
	.loc	1 48 21                         ; attention_bwd.py:48:21 @[ attention_bwd.py:200:26 ]
	s_and_b32 vcc_lo, exec_lo, s0
	s_delay_alu instid0(VALU_DEP_2) | instskip(NEXT) | instid1(VALU_DEP_1)
	.loc	1 41 49 is_stmt 1               ; attention_bwd.py:41:49 @[ attention_bwd.py:200:26 ]
	v_ashrrev_i32_e32 v3, 31, v2
	v_lshlrev_b64 v[2:3], 1, v[2:3]
	scratch_store_b64 off, v[2:3], off offset:1684 ; 8-byte Folded Spill
	.loc	1 48 21                         ; attention_bwd.py:48:21 @[ attention_bwd.py:200:26 ]
	s_cbranch_vccnz .LBB0_28
; %bb.27:
	.loc	1 0 21 is_stmt 0                ; attention_bwd.py:0:21
	scratch_load_b64 v[2:3], off, off offset:1684 ; 8-byte Folded Reload
	.loc	1 41 49 is_stmt 1               ; attention_bwd.py:41:49 @[ attention_bwd.py:200:26 ]
	s_waitcnt vmcnt(0)
	v_add_co_u32 v2, vcc_lo, v139, v2
	s_delay_alu instid0(VALU_DEP_1)
	v_add_co_ci_u32_e64 v3, null, v140, v3, vcc_lo
	.loc	1 48 21                         ; attention_bwd.py:48:21 @[ attention_bwd.py:200:26 ]
	global_load_u16 v126, v[2:3], off
.Ltmp89:
.LBB0_28:
	.loc	1 171 69                        ; attention_bwd.py:171:69
	s_mul_i32 s60, s11, 52
.Ltmp90:
	.loc	1 48 21                         ; attention_bwd.py:48:21 @[ attention_bwd.py:200:26 ]
	s_and_b32 vcc_lo, exec_lo, s0
.Ltmp91:
	.loc	1 41 67                         ; attention_bwd.py:41:67 @[ attention_bwd.py:184:50 ]
	v_add_nc_u32_e32 v2, s60, v137
	s_delay_alu instid0(VALU_DEP_1) | instskip(NEXT) | instid1(VALU_DEP_1)
.Ltmp92:
	.loc	1 41 49 is_stmt 0               ; attention_bwd.py:41:49 @[ attention_bwd.py:200:26 ]
	v_ashrrev_i32_e32 v3, 31, v2
	v_lshlrev_b64 v[2:3], 1, v[2:3]
	.loc	1 48 21 is_stmt 1               ; attention_bwd.py:48:21 @[ attention_bwd.py:200:26 ]
	scratch_store_b64 off, v[2:3], off offset:1692 ; 8-byte Folded Spill
	s_cbranch_vccnz .LBB0_30
; %bb.29:
	.loc	1 0 21 is_stmt 0                ; attention_bwd.py:0:21
	scratch_load_b64 v[2:3], off, off offset:1692 ; 8-byte Folded Reload
	.loc	1 41 49 is_stmt 1               ; attention_bwd.py:41:49 @[ attention_bwd.py:200:26 ]
	s_waitcnt vmcnt(0)
	v_add_co_u32 v2, vcc_lo, v139, v2
	s_delay_alu instid0(VALU_DEP_1)
	v_add_co_ci_u32_e64 v3, null, v140, v3, vcc_lo
	.loc	1 48 21                         ; attention_bwd.py:48:21 @[ attention_bwd.py:200:26 ]
	global_load_u16 v125, v[2:3], off
.Ltmp93:
.LBB0_30:
	.loc	1 171 69                        ; attention_bwd.py:171:69
	s_mul_i32 s61, s11, 56
	v_mov_b32_e32 v252, 0
	v_dual_mov_b32 v251, 0 :: v_dual_add_nc_u32 v2, s61, v137
.Ltmp94:
	.loc	1 48 21                         ; attention_bwd.py:48:21 @[ attention_bwd.py:200:26 ]
	s_and_b32 vcc_lo, exec_lo, s0
	s_delay_alu instid0(VALU_DEP_1) | instskip(NEXT) | instid1(VALU_DEP_1)
	.loc	1 41 49                         ; attention_bwd.py:41:49 @[ attention_bwd.py:200:26 ]
	v_ashrrev_i32_e32 v3, 31, v2
	v_lshlrev_b64 v[2:3], 1, v[2:3]
	scratch_store_b64 off, v[2:3], off offset:1700 ; 8-byte Folded Spill
	.loc	1 48 21                         ; attention_bwd.py:48:21 @[ attention_bwd.py:200:26 ]
	s_cbranch_vccnz .LBB0_32
; %bb.31:
	.loc	1 0 21 is_stmt 0                ; attention_bwd.py:0:21
	scratch_load_b64 v[2:3], off, off offset:1700 ; 8-byte Folded Reload
	.loc	1 41 49 is_stmt 1               ; attention_bwd.py:41:49 @[ attention_bwd.py:200:26 ]
	s_waitcnt vmcnt(0)
	v_add_co_u32 v2, vcc_lo, v139, v2
	s_delay_alu instid0(VALU_DEP_1)
	v_add_co_ci_u32_e64 v3, null, v140, v3, vcc_lo
	.loc	1 48 21                         ; attention_bwd.py:48:21 @[ attention_bwd.py:200:26 ]
	global_load_u16 v252, v[2:3], off
.Ltmp95:
.LBB0_32:
	.loc	1 171 69                        ; attention_bwd.py:171:69
	s_mul_i32 s62, s11, 60
.Ltmp96:
	.loc	1 48 21                         ; attention_bwd.py:48:21 @[ attention_bwd.py:200:26 ]
	s_and_b32 vcc_lo, exec_lo, s0
.Ltmp97:
	.loc	1 41 67                         ; attention_bwd.py:41:67 @[ attention_bwd.py:184:50 ]
	v_add_nc_u32_e32 v2, s62, v137
	s_delay_alu instid0(VALU_DEP_1) | instskip(NEXT) | instid1(VALU_DEP_1)
.Ltmp98:
	.loc	1 41 49 is_stmt 0               ; attention_bwd.py:41:49 @[ attention_bwd.py:200:26 ]
	v_ashrrev_i32_e32 v3, 31, v2
	v_lshlrev_b64 v[2:3], 1, v[2:3]
	.loc	1 48 21 is_stmt 1               ; attention_bwd.py:48:21 @[ attention_bwd.py:200:26 ]
	scratch_store_b64 off, v[2:3], off offset:1708 ; 8-byte Folded Spill
	s_cbranch_vccz .LBB0_107
; %bb.33:
	.loc	1 0 21 is_stmt 0                ; attention_bwd.py:0:21
	v_dual_mov_b32 v33, 0 :: v_dual_mov_b32 v34, 0
	.loc	1 58 21 is_stmt 1               ; attention_bwd.py:58:21 @[ attention_bwd.py:200:26 ]
	s_and_b32 vcc_lo, exec_lo, s0
	s_cbranch_vccz .LBB0_108
.LBB0_34:
	s_and_b32 vcc_lo, exec_lo, s0
	s_cbranch_vccz .LBB0_109
.LBB0_35:
	.loc	1 0 21 is_stmt 0                ; attention_bwd.py:0:21
	v_dual_mov_b32 v35, 0 :: v_dual_mov_b32 v36, 0
	.loc	1 58 21                         ; attention_bwd.py:58:21 @[ attention_bwd.py:200:26 ]
	s_and_b32 vcc_lo, exec_lo, s0
	s_cbranch_vccz .LBB0_110
.LBB0_36:
	s_and_b32 vcc_lo, exec_lo, s0
	s_cbranch_vccz .LBB0_111
.LBB0_37:
	.loc	1 0 21                          ; attention_bwd.py:0:21
	v_dual_mov_b32 v37, 0 :: v_dual_mov_b32 v38, 0
	.loc	1 58 21                         ; attention_bwd.py:58:21 @[ attention_bwd.py:200:26 ]
	s_and_b32 vcc_lo, exec_lo, s0
	s_cbranch_vccz .LBB0_112
.LBB0_38:
	s_and_b32 vcc_lo, exec_lo, s0
	s_cbranch_vccz .LBB0_113
.LBB0_39:
	.loc	1 0 21                          ; attention_bwd.py:0:21
	v_dual_mov_b32 v39, 0 :: v_dual_mov_b32 v40, 0
	.loc	1 58 21                         ; attention_bwd.py:58:21 @[ attention_bwd.py:200:26 ]
	s_and_b32 vcc_lo, exec_lo, s0
	s_cbranch_vccz .LBB0_114
.LBB0_40:
	s_and_b32 vcc_lo, exec_lo, s0
	s_cbranch_vccz .LBB0_115
.LBB0_41:
	.loc	1 0 21                          ; attention_bwd.py:0:21
	v_dual_mov_b32 v17, 0 :: v_dual_mov_b32 v18, 0
	.loc	1 58 21                         ; attention_bwd.py:58:21 @[ attention_bwd.py:200:26 ]
	s_and_b32 vcc_lo, exec_lo, s0
	s_cbranch_vccz .LBB0_116
.LBB0_42:
	s_and_b32 vcc_lo, exec_lo, s0
	s_cbranch_vccz .LBB0_117
.LBB0_43:
	.loc	1 0 21                          ; attention_bwd.py:0:21
	v_dual_mov_b32 v19, 0 :: v_dual_mov_b32 v20, 0
	.loc	1 58 21                         ; attention_bwd.py:58:21 @[ attention_bwd.py:200:26 ]
	s_and_b32 vcc_lo, exec_lo, s0
	s_cbranch_vccz .LBB0_118
.LBB0_44:
	s_and_b32 vcc_lo, exec_lo, s0
	s_cbranch_vccz .LBB0_119
.LBB0_45:
	.loc	1 0 21                          ; attention_bwd.py:0:21
	v_dual_mov_b32 v21, 0 :: v_dual_mov_b32 v22, 0
	.loc	1 58 21                         ; attention_bwd.py:58:21 @[ attention_bwd.py:200:26 ]
	s_and_b32 vcc_lo, exec_lo, s0
	s_cbranch_vccz .LBB0_120
.LBB0_46:
	s_and_b32 vcc_lo, exec_lo, s0
	s_cbranch_vccz .LBB0_121
.LBB0_47:
	.loc	1 0 21                          ; attention_bwd.py:0:21
	v_dual_mov_b32 v23, 0 :: v_dual_mov_b32 v24, 0
	.loc	1 58 21                         ; attention_bwd.py:58:21 @[ attention_bwd.py:200:26 ]
	s_and_b32 vcc_lo, exec_lo, s0
	s_cbranch_vccz .LBB0_122
.LBB0_48:
	s_and_b32 vcc_lo, exec_lo, s0
	s_cbranch_vccnz .LBB0_50
.LBB0_49:
	.loc	1 38 23 is_stmt 1               ; attention_bwd.py:38:23 @[ attention_bwd.py:200:26 ]
	scratch_load_b32 v0, off, off offset:1128 ; 4-byte Folded Reload
	s_waitcnt vmcnt(0)
	v_or_b32_e32 v0, s2, v0
	s_delay_alu instid0(VALU_DEP_1) | instskip(NEXT) | instid1(VALU_DEP_1)
	.loc	1 42 37                         ; attention_bwd.py:42:37 @[ attention_bwd.py:200:26 ]
	v_mul_lo_u32 v2, s10, v0
	.loc	1 42 19 is_stmt 0               ; attention_bwd.py:42:19 @[ attention_bwd.py:200:26 ]
	v_ashrrev_i32_e32 v3, 31, v2
	s_delay_alu instid0(VALU_DEP_1) | instskip(NEXT) | instid1(VALU_DEP_1)
	v_lshlrev_b64 v[2:3], 1, v[2:3]
	v_add_co_u32 v0, vcc_lo, s47, v2
	s_delay_alu instid0(VALU_DEP_1) | instskip(NEXT) | instid1(VALU_DEP_2)
	v_add_co_ci_u32_e64 v3, null, s48, v3, vcc_lo
	.loc	1 42 50                         ; attention_bwd.py:42:50 @[ attention_bwd.py:200:26 ]
	v_add_co_u32 v2, vcc_lo, v0, v127
	s_delay_alu instid0(VALU_DEP_1)
	v_add_co_ci_u32_e64 v3, null, v3, v128, vcc_lo
	.loc	1 58 21 is_stmt 1               ; attention_bwd.py:58:21 @[ attention_bwd.py:200:26 ]
	global_load_u16 v23, v[2:3], off
.LBB0_50:
	.loc	1 50 26                         ; attention_bwd.py:50:26 @[ attention_bwd.py:200:26 ]
	v_or_b32_e32 v137, s2, v233
	v_dual_mov_b32 v248, 0 :: v_dual_mov_b32 v253, 0
	.loc	1 51 20                         ; attention_bwd.py:51:20 @[ attention_bwd.py:200:26 ]
	s_and_b32 vcc_lo, exec_lo, s0
	s_delay_alu instid0(VALU_DEP_2)
	v_ashrrev_i32_e32 v138, 31, v137
	s_cbranch_vccnz .LBB0_52
; %bb.51:
	.loc	1 0 20 is_stmt 0                ; attention_bwd.py:0:20
	s_delay_alu instid0(VALU_DEP_1) | instskip(NEXT) | instid1(VALU_DEP_1)
	v_lshlrev_b64 v[2:3], 2, v[137:138]
	v_add_co_u32 v2, vcc_lo, s45, v2
	s_delay_alu instid0(VALU_DEP_1)
	v_add_co_ci_u32_e64 v3, null, s46, v3, vcc_lo
	.loc	1 51 20                         ; attention_bwd.py:51:20 @[ attention_bwd.py:200:26 ]
	global_load_b32 v253, v[2:3], off
.LBB0_52:
	.loc	1 51 24                         ; attention_bwd.py:51:24 @[ attention_bwd.py:200:26 ]
	s_ashr_i32 s3, s2, 31
	v_add_co_u32 v2, s2, v233, s2
	s_delay_alu instid0(VALU_DEP_1) | instskip(NEXT) | instid1(VALU_DEP_1)
	v_add_co_ci_u32_e64 v3, null, 0, s3, s2
	v_lshlrev_b64 v[139:140], 2, v[2:3]
	s_delay_alu instid0(VALU_DEP_1) | instskip(NEXT) | instid1(VALU_DEP_1)
	v_add_co_u32 v141, vcc_lo, s45, v139
	v_add_co_ci_u32_e64 v142, null, s46, v140, vcc_lo
	.loc	1 51 20                         ; attention_bwd.py:51:20 @[ attention_bwd.py:200:26 ]
	s_and_b32 vcc_lo, exec_lo, s0
	s_cbranch_vccz .LBB0_123
; %bb.53:
	.loc	1 0 20                          ; attention_bwd.py:0:20
	v_dual_mov_b32 v2, 0 :: v_dual_mov_b32 v3, 0
	.loc	1 51 20                         ; attention_bwd.py:51:20 @[ attention_bwd.py:200:26 ]
	s_and_b32 vcc_lo, exec_lo, s0
	s_cbranch_vccz .LBB0_124
.LBB0_54:
	s_and_b32 vcc_lo, exec_lo, s0
	s_cbranch_vccz .LBB0_125
.LBB0_55:
	.loc	1 0 20                          ; attention_bwd.py:0:20
	v_dual_mov_b32 v6, 0 :: v_dual_mov_b32 v7, 0
	.loc	1 51 20                         ; attention_bwd.py:51:20 @[ attention_bwd.py:200:26 ]
	s_and_b32 vcc_lo, exec_lo, s0
	s_cbranch_vccz .LBB0_126
.LBB0_56:
	s_and_b32 vcc_lo, exec_lo, s0
	s_cbranch_vccnz .LBB0_58
.LBB0_57:
	global_load_b32 v6, v[141:142], off offset:40
.LBB0_58:
	.loc	1 0 20                          ; attention_bwd.py:0:20
	v_mov_b32_e32 v8, 0
	v_mov_b32_e32 v0, 0
	.loc	1 51 20                         ; attention_bwd.py:51:20 @[ attention_bwd.py:200:26 ]
	s_and_b32 vcc_lo, exec_lo, s0
	scratch_store_b32 off, v0, off offset:840 ; 4-byte Folded Spill
	s_cbranch_vccnz .LBB0_60
; %bb.59:
	global_load_b32 v0, v[141:142], off offset:48
	s_waitcnt vmcnt(0)
	scratch_store_b32 off, v0, off offset:840 ; 4-byte Folded Spill
.LBB0_60:
	s_and_b32 vcc_lo, exec_lo, s0
	s_cbranch_vccnz .LBB0_62
; %bb.61:
	global_load_b32 v8, v[141:142], off offset:56
.LBB0_62:
	.loc	1 0 20                          ; attention_bwd.py:0:20
	v_dual_mov_b32 v247, 0 :: v_dual_mov_b32 v0, 0
	.loc	1 51 20                         ; attention_bwd.py:51:20 @[ attention_bwd.py:200:26 ]
	s_and_b32 vcc_lo, exec_lo, s0
	scratch_store_b32 off, v0, off offset:1124 ; 4-byte Folded Spill
	s_cbranch_vccnz .LBB0_64
; %bb.63:
	global_load_b32 v0, v[141:142], off offset:64
	s_waitcnt vmcnt(0)
	scratch_store_b32 off, v0, off offset:1124 ; 4-byte Folded Spill
.LBB0_64:
	s_and_b32 vcc_lo, exec_lo, s0
	s_cbranch_vccnz .LBB0_66
; %bb.65:
	global_load_b32 v247, v[141:142], off offset:72
.LBB0_66:
	.loc	1 0 20                          ; attention_bwd.py:0:20
	v_mov_b32_e32 v0, 0
	.loc	1 51 20                         ; attention_bwd.py:51:20 @[ attention_bwd.py:200:26 ]
	s_and_b32 vcc_lo, exec_lo, s0
	scratch_store_b32 off, v0, off offset:548 ; 4-byte Folded Spill
	v_mov_b32_e32 v0, 0
	scratch_store_b32 off, v0, off offset:1128 ; 4-byte Folded Spill
	s_cbranch_vccnz .LBB0_68
; %bb.67:
	global_load_b32 v0, v[141:142], off offset:80
	s_waitcnt vmcnt(0)
	scratch_store_b32 off, v0, off offset:1128 ; 4-byte Folded Spill
.LBB0_68:
	s_and_b32 vcc_lo, exec_lo, s0
	s_cbranch_vccnz .LBB0_70
; %bb.69:
	global_load_b32 v0, v[141:142], off offset:88
	s_waitcnt vmcnt(0)
	scratch_store_b32 off, v0, off offset:548 ; 4-byte Folded Spill
.LBB0_70:
	.loc	1 0 20                          ; attention_bwd.py:0:20
	v_mov_b32_e32 v0, 0
	.loc	1 51 20                         ; attention_bwd.py:51:20 @[ attention_bwd.py:200:26 ]
	s_and_b32 vcc_lo, exec_lo, s0
	scratch_store_b32 off, v0, off offset:580 ; 4-byte Folded Spill
	v_mov_b32_e32 v0, 0
	scratch_store_b32 off, v0, off offset:1116 ; 4-byte Folded Spill
	s_cbranch_vccnz .LBB0_72
; %bb.71:
	global_load_b32 v0, v[141:142], off offset:96
	s_waitcnt vmcnt(0)
	scratch_store_b32 off, v0, off offset:1116 ; 4-byte Folded Spill
.LBB0_72:
	s_and_b32 vcc_lo, exec_lo, s0
	s_cbranch_vccnz .LBB0_74
; %bb.73:
	global_load_b32 v0, v[141:142], off offset:104
	s_waitcnt vmcnt(0)
	scratch_store_b32 off, v0, off offset:580 ; 4-byte Folded Spill
.LBB0_74:
	.loc	1 0 20                          ; attention_bwd.py:0:20
	v_dual_mov_b32 v0, 0 :: v_dual_mov_b32 v5, 0
	.loc	1 51 20                         ; attention_bwd.py:51:20 @[ attention_bwd.py:200:26 ]
	s_and_b32 vcc_lo, exec_lo, s0
	scratch_store_b32 off, v0, off offset:1120 ; 4-byte Folded Spill
	s_cbranch_vccnz .LBB0_76
; %bb.75:
	global_load_b32 v5, v[141:142], off offset:112
.LBB0_76:
	s_and_b32 vcc_lo, exec_lo, s0
	scratch_store_b32 off, v134, off offset:2568 ; 4-byte Folded Spill
	s_cbranch_vccnz .LBB0_78
; %bb.77:
	global_load_b32 v0, v[141:142], off offset:120
	s_waitcnt vmcnt(0)
	scratch_store_b32 off, v0, off offset:1120 ; 4-byte Folded Spill
.LBB0_78:
	.loc	1 0 20                          ; attention_bwd.py:0:20
	s_waitcnt vmcnt(0)
	s_clause 0x4                            ; 20-byte Folded Spill
	scratch_store_b32 off, v8, off offset:1252
	scratch_store_b32 off, v7, off offset:1248
	;; [unrolled: 1-line block ×5, first 2 shown]
	v_dual_mov_b32 v6, 0 :: v_dual_mov_b32 v3, 0
	.loc	1 64 21 is_stmt 1               ; attention_bwd.py:64:21 @[ attention_bwd.py:200:26 ]
	s_and_b32 vcc_lo, exec_lo, s0
	s_cbranch_vccnz .LBB0_80
; %bb.79:
	.loc	1 0 21 is_stmt 0                ; attention_bwd.py:0:21
	v_lshlrev_b64 v[2:3], 2, v[137:138]
	s_delay_alu instid0(VALU_DEP_1) | instskip(NEXT) | instid1(VALU_DEP_1)
	v_add_co_u32 v2, vcc_lo, s43, v2
	v_add_co_ci_u32_e64 v3, null, s44, v3, vcc_lo
	.loc	1 64 21                         ; attention_bwd.py:64:21 @[ attention_bwd.py:200:26 ]
	global_load_b32 v3, v[2:3], off
.LBB0_80:
	.loc	1 64 25                         ; attention_bwd.py:64:25 @[ attention_bwd.py:200:26 ]
	v_add_co_u32 v249, vcc_lo, s43, v139
	s_delay_alu instid0(VALU_DEP_1)
	v_add_co_ci_u32_e64 v250, null, s44, v140, vcc_lo
	.loc	1 64 21                         ; attention_bwd.py:64:21 @[ attention_bwd.py:200:26 ]
	s_and_b32 vcc_lo, exec_lo, s0
	scratch_store_b32 off, v130, off offset:1612 ; 4-byte Folded Spill
	s_cbranch_vccz .LBB0_127
; %bb.81:
	.loc	1 0 21                          ; attention_bwd.py:0:21
	v_mov_b32_e32 v130, 0
	v_mov_b32_e32 v0, 0
	.loc	1 64 21                         ; attention_bwd.py:64:21 @[ attention_bwd.py:200:26 ]
	s_and_b32 vcc_lo, exec_lo, s0
	s_cbranch_vccz .LBB0_128
.LBB0_82:
	s_and_b32 vcc_lo, exec_lo, s0
	scratch_store_b32 off, v5, off offset:1208 ; 4-byte Folded Spill
	s_cbranch_vccz .LBB0_129
.LBB0_83:
	.loc	1 0 21                          ; attention_bwd.py:0:21
	v_dual_mov_b32 v2, 0 :: v_dual_mov_b32 v7, 0
	.loc	1 64 21                         ; attention_bwd.py:64:21 @[ attention_bwd.py:200:26 ]
	s_and_b32 vcc_lo, exec_lo, s0
	s_cbranch_vccz .LBB0_130
.LBB0_84:
	s_and_b32 vcc_lo, exec_lo, s0
	s_cbranch_vccnz .LBB0_86
.LBB0_85:
	global_load_b32 v2, v[249:250], off offset:40
.LBB0_86:
	.loc	1 0 21                          ; attention_bwd.py:0:21
	v_dual_mov_b32 v5, 0 :: v_dual_mov_b32 v8, 0
	.loc	1 64 21                         ; attention_bwd.py:64:21 @[ attention_bwd.py:200:26 ]
	s_and_b32 vcc_lo, exec_lo, s0
	scratch_store_b32 off, v239, off offset:2576 ; 4-byte Folded Spill
	s_cbranch_vccnz .LBB0_88
; %bb.87:
	global_load_b32 v8, v[249:250], off offset:48
.LBB0_88:
	s_and_b32 vcc_lo, exec_lo, s0
	s_waitcnt vmcnt(0)
	s_clause 0x3                            ; 16-byte Folded Spill
	scratch_store_b32 off, v2, off offset:1164
	scratch_store_b32 off, v0, off offset:1132
	;; [unrolled: 1-line block ×4, first 2 shown]
	s_cbranch_vccz .LBB0_131
; %bb.89:
	.loc	1 0 21                          ; attention_bwd.py:0:21
	v_mov_b32_e32 v2, 0
	v_mov_b32_e32 v0, 0
	.loc	1 64 21                         ; attention_bwd.py:64:21 @[ attention_bwd.py:200:26 ]
	s_and_b32 vcc_lo, exec_lo, s0
	s_cbranch_vccz .LBB0_132
.LBB0_90:
	s_and_b32 vcc_lo, exec_lo, s0
	s_waitcnt vmcnt(0)
	scratch_store_b32 off, v5, off offset:1172 ; 4-byte Folded Spill
	s_cbranch_vccz .LBB0_133
.LBB0_91:
	.loc	1 0 21                          ; attention_bwd.py:0:21
	v_dual_mov_b32 v5, 0 :: v_dual_mov_b32 v6, 0
	.loc	1 64 21                         ; attention_bwd.py:64:21 @[ attention_bwd.py:200:26 ]
	s_and_b32 vcc_lo, exec_lo, s0
	s_cbranch_vccnz .LBB0_93
.LBB0_92:
	global_load_b32 v6, v[249:250], off offset:80
.LBB0_93:
	s_and_b32 vcc_lo, exec_lo, s0
	s_clause 0x2                            ; 12-byte Folded Spill
	scratch_store_b32 off, v8, off offset:1176
	scratch_store_b32 off, v7, off offset:1168
	;; [unrolled: 1-line block ×3, first 2 shown]
	s_cbranch_vccnz .LBB0_95
; %bb.94:
	global_load_b32 v5, v[249:250], off offset:88
.LBB0_95:
	.loc	1 0 21                          ; attention_bwd.py:0:21
	scratch_load_b32 v3, off, off offset:1612 ; 4-byte Folded Reload
	v_mov_b32_e32 v7, 0
	.loc	1 64 21                         ; attention_bwd.py:64:21 @[ attention_bwd.py:200:26 ]
	s_and_b32 vcc_lo, exec_lo, s0
	s_waitcnt vmcnt(0)
	ds_load_b128 v[137:140], v3
	ds_load_b128 v[141:144], v3 offset:16
	ds_load_b128 v[145:148], v3 offset:512
	;; [unrolled: 1-line block ×7, first 2 shown]
	ds_load_u16 v169, v240 offset:2048
	ds_load_u16 v170, v240 offset:2304
	;; [unrolled: 1-line block ×32, first 2 shown]
	v_mov_b32_e32 v3, 0
	s_cbranch_vccnz .LBB0_97
; %bb.96:
	global_load_b32 v7, v[249:250], off offset:96
.LBB0_97:
	.loc	1 0 21                          ; attention_bwd.py:0:21
	s_waitcnt lgkmcnt(31)
	ds_load_u16_d16_hi v169, v240 offset:2176
	s_waitcnt lgkmcnt(31)
	ds_load_u16_d16_hi v170, v240 offset:2432
	;; [unrolled: 2-line block ×32, first 2 shown]
	v_perm_b32 v201, v203, v202, v129
	v_perm_b32 v202, v203, v202, v254
	;; [unrolled: 1-line block ×32, first 2 shown]
	.loc	1 64 21                         ; attention_bwd.py:64:21 @[ attention_bwd.py:200:26 ]
	s_and_b32 vcc_lo, exec_lo, s0
	s_cbranch_vccnz .LBB0_99
; %bb.98:
	global_load_b32 v3, v[249:250], off offset:104
.LBB0_99:
	.loc	1 0 21                          ; attention_bwd.py:0:21
	s_waitcnt vmcnt(0)
	s_clause 0x1                            ; 8-byte Folded Spill
	scratch_store_b32 off, v7, off offset:788
	scratch_store_b32 off, v3, off offset:780
	v_mov_b32_e32 v1, 0
	v_mov_b32_e32 v3, 0
	.loc	1 64 21                         ; attention_bwd.py:64:21 @[ attention_bwd.py:200:26 ]
	s_and_b32 vcc_lo, exec_lo, s0
	s_cbranch_vccnz .LBB0_101
; %bb.100:
	global_load_b32 v3, v[249:250], off offset:112
.LBB0_101:
	.loc	1 0 21                          ; attention_bwd.py:0:21
	s_clause 0x1                            ; 32-byte Folded Reload
	scratch_load_b128 v[25:28], off, off offset:748
	scratch_load_b128 v[29:32], off, off offset:764
	s_waitcnt lgkmcnt(4)
	v_wmma_f32_16x16x16_f16 v[57:64], v[177:184], v[201:208], v[57:64]
	s_waitcnt lgkmcnt(2)
	v_wmma_f32_16x16x16_f16 v[81:88], v[185:192], v[201:208], v[81:88]
	v_wmma_f32_16x16x16_f16 v[105:112], v[177:184], v[209:216], v[105:112]
	s_clause 0x3                            ; 64-byte Folded Reload
	scratch_load_b128 v[177:180], off, off offset:804
	scratch_load_b128 v[181:184], off, off offset:820
	;; [unrolled: 1-line block ×4, first 2 shown]
	s_waitcnt lgkmcnt(0)
	v_wmma_f32_16x16x16_f16 v[89:96], v[193:200], v[201:208], v[89:96]
	v_wmma_f32_16x16x16_f16 v[97:104], v[169:176], v[209:216], v[97:104]
	;; [unrolled: 1-line block ×6, first 2 shown]
	.loc	1 64 21                         ; attention_bwd.py:64:21 @[ attention_bwd.py:200:26 ]
	s_and_b32 vcc_lo, exec_lo, s0
	s_waitcnt vmcnt(6)
	scratch_store_b32 off, v3, off offset:796 ; 4-byte Folded Spill
	s_waitcnt vmcnt(4)
	v_wmma_f32_16x16x16_f16 v[25:32], v[169:176], v[201:208], v[25:32]
	s_clause 0x1                            ; 32-byte Folded Spill
	scratch_store_b128 off, v[25:28], off offset:748
	scratch_store_b128 off, v[29:32], off offset:764
	s_clause 0x1                            ; 32-byte Folded Reload
	scratch_load_b128 v[25:28], off, off offset:620
	scratch_load_b128 v[29:32], off, off offset:636
	s_waitcnt vmcnt(4)
	v_wmma_f32_16x16x16_f16 v[177:184], v[137:144], v[225:232], v[177:184]
	s_waitcnt vmcnt(2)
	v_wmma_f32_16x16x16_f16 v[9:16], v[153:160], v[225:232], v[9:16]
	;; [unrolled: 2-line block ×3, first 2 shown]
	s_clause 0x1                            ; 32-byte Folded Reload
	scratch_load_b128 v[185:188], off, off offset:716
	scratch_load_b128 v[189:192], off, off offset:732
	s_clause 0x1                            ; 32-byte Folded Spill
	scratch_store_b128 off, v[25:28], off offset:620
	scratch_store_b128 off, v[29:32], off offset:636
	s_clause 0x1                            ; 32-byte Folded Reload
	scratch_load_b128 v[25:28], off, off offset:588
	scratch_load_b128 v[29:32], off, off offset:604
	s_waitcnt vmcnt(2)
	v_wmma_f32_16x16x16_f16 v[185:192], v[161:168], v[225:232], v[185:192]
	s_waitcnt vmcnt(0)
	v_wmma_f32_16x16x16_f16 v[25:32], v[193:200], v[209:216], v[25:32]
	s_clause 0x1                            ; 32-byte Folded Spill
	scratch_store_b128 off, v[25:28], off offset:588
	scratch_store_b128 off, v[29:32], off offset:604
	s_clause 0x1                            ; 32-byte Folded Reload
	scratch_load_b128 v[25:28], off, off offset:652
	scratch_load_b128 v[29:32], off, off offset:668
	s_waitcnt vmcnt(0)
	v_wmma_f32_16x16x16_f16 v[25:32], v[145:152], v[225:232], v[25:32]
	s_cbranch_vccnz .LBB0_103
; %bb.102:
	global_load_b32 v1, v[249:250], off offset:120
.LBB0_103:
	.loc	1 0 21                          ; attention_bwd.py:0:21
	v_mov_b32_e32 v130, v247
	.loc	1 72 28 is_stmt 1               ; attention_bwd.py:72:28 @[ attention_bwd.py:200:26 ]
	s_lshl_b32 s2, s10, 5
	.loc	1 47 25                         ; attention_bwd.py:47:25 @[ attention_bwd.py:200:26 ]
	s_cmp_lt_i32 s24, 64
	.loc	1 48 21                         ; attention_bwd.py:48:21 @[ attention_bwd.py:200:26 ]
	s_waitcnt vmcnt(0)
	s_waitcnt_vscnt null, 0x0
	s_barrier
	buffer_gl0_inv
	ds_store_b16 v255, v114
	ds_store_b16 v255, v113 offset:256
	ds_store_b16 v255, v116 offset:512
	;; [unrolled: 1-line block ×15, first 2 shown]
	.loc	1 58 21                         ; attention_bwd.py:58:21 @[ attention_bwd.py:200:26 ]
	ds_store_b16 v255, v34 offset:4096
	ds_store_b16 v255, v33 offset:4352
	;; [unrolled: 1-line block ×16, first 2 shown]
	.loc	1 47 25                         ; attention_bwd.py:47:25 @[ attention_bwd.py:200:26 ]
	s_clause 0x8                            ; 64-byte Folded Spill
	scratch_store_b32 off, v129, off
	scratch_store_b64 off, v[132:133], off offset:2268
	scratch_store_b64 off, v[135:136], off offset:2276
	;; [unrolled: 1-line block ×7, first 2 shown]
	scratch_store_b32 off, v238, off offset:2556
	s_cbranch_scc1 .LBB0_134
.Ltmp99:
; %bb.104:                              ; %.lr.ph
	.loc	1 0 25 is_stmt 0                ; attention_bwd.py:0:25
	scratch_load_b32 v33, off, off offset:972 ; 4-byte Folded Reload
	v_mov_b32_e32 v115, v0
	v_dual_mov_b32 v117, v1 :: v_dual_mov_b32 v20, v6
	v_mov_b32_e32 v19, v2
	.loc	1 191 37 is_stmt 1              ; attention_bwd.py:191:37
	s_ashr_i32 s4, s24, 31
	s_ashr_i32 s3, s2, 31
	s_lshr_b32 s25, s4, 27
.Ltmp100:
	.loc	1 47 25                         ; attention_bwd.py:47:25 @[ attention_bwd.py:200:26 ]
	s_lshl_b64 s[4:5], s[2:3], 1
.Ltmp101:
	.loc	1 191 37                        ; attention_bwd.py:191:37
	s_add_i32 s24, s24, s25
.Ltmp102:
	.loc	1 47 25                         ; attention_bwd.py:47:25 @[ attention_bwd.py:200:26 ]
	s_add_i32 s63, s14, 0xa0
.Ltmp103:
	.loc	1 191 37                        ; attention_bwd.py:191:37
	s_ashr_i32 s3, s24, 5
	scratch_store_b32 off, v131, off offset:1628 ; 4-byte Folded Spill
.Ltmp104:
	.loc	1 47 25                         ; attention_bwd.py:47:25 @[ attention_bwd.py:200:26 ]
	s_max_i32 s3, s3, 2
	s_add_u32 s16, s16, s4
	s_addc_u32 s17, s17, s5
	s_clause 0x9                            ; 160-byte Folded Spill
	scratch_store_b128 off, v[57:60], off offset:988
	scratch_store_b128 off, v[61:64], off offset:1004
	;; [unrolled: 1-line block ×10, first 2 shown]
	s_clause 0x11                           ; 72-byte Folded Reload
	scratch_load_b32 v119, off, off offset:1240
	scratch_load_b32 v252, off, off offset:1244
	;; [unrolled: 1-line block ×18, first 2 shown]
	s_mov_b32 s24, 0
	v_mov_b32_e32 v116, v5
	s_mov_b32 s25, s24
	s_mov_b32 s26, s24
	;; [unrolled: 1-line block ×7, first 2 shown]
	s_waitcnt vmcnt(18)
	v_add_nc_u32_e32 v0, 0x9e, v33
	v_add_nc_u32_e32 v1, 0x9c, v33
	;; [unrolled: 1-line block ×4, first 2 shown]
	s_delay_alu instid0(VALU_DEP_4) | instskip(NEXT) | instid1(VALU_DEP_4)
	v_mul_lo_u32 v0, s10, v0
	v_mul_lo_u32 v2, s10, v1
	s_delay_alu instid0(VALU_DEP_4) | instskip(NEXT) | instid1(VALU_DEP_4)
	v_mul_lo_u32 v4, s10, v3
	v_mul_lo_u32 v6, s10, v5
	s_delay_alu instid0(VALU_DEP_4) | instskip(NEXT) | instid1(VALU_DEP_4)
	v_ashrrev_i32_e32 v1, 31, v0
	v_ashrrev_i32_e32 v3, 31, v2
	s_delay_alu instid0(VALU_DEP_4) | instskip(NEXT) | instid1(VALU_DEP_3)
	v_ashrrev_i32_e32 v5, 31, v4
	v_lshlrev_b64 v[0:1], 1, v[0:1]
	s_delay_alu instid0(VALU_DEP_1) | instskip(NEXT) | instid1(VALU_DEP_1)
	v_add_co_u32 v7, vcc_lo, v0, v127
	v_add_co_ci_u32_e64 v8, null, v1, v128, vcc_lo
	v_lshlrev_b64 v[0:1], 1, v[2:3]
	s_delay_alu instid0(VALU_DEP_3) | instskip(NEXT) | instid1(VALU_DEP_1)
	v_add_co_u32 v17, vcc_lo, s16, v7
	v_add_co_ci_u32_e64 v118, null, s17, v8, vcc_lo
	v_ashrrev_i32_e32 v7, 31, v6
	s_delay_alu instid0(VALU_DEP_4) | instskip(NEXT) | instid1(VALU_DEP_1)
	v_add_co_u32 v2, vcc_lo, v0, v127
	v_add_co_ci_u32_e64 v3, null, v1, v128, vcc_lo
	v_lshlrev_b64 v[0:1], 1, v[4:5]
	v_add_nc_u32_e32 v4, 0x96, v33
	s_delay_alu instid0(VALU_DEP_4) | instskip(NEXT) | instid1(VALU_DEP_1)
	v_add_co_u32 v18, vcc_lo, s16, v2
	v_add_co_ci_u32_e64 v149, null, s17, v3, vcc_lo
	s_delay_alu instid0(VALU_DEP_3) | instskip(SKIP_1) | instid1(VALU_DEP_1)
	v_mul_lo_u32 v2, s10, v4
	v_add_co_u32 v3, vcc_lo, v0, v127
	v_add_co_ci_u32_e64 v4, null, v1, v128, vcc_lo
	v_add_nc_u32_e32 v5, 0x94, v33
	v_lshlrev_b64 v[0:1], 1, v[6:7]
	s_delay_alu instid0(VALU_DEP_4) | instskip(NEXT) | instid1(VALU_DEP_1)
	v_add_co_u32 v150, vcc_lo, s16, v3
	v_add_co_ci_u32_e64 v21, null, s17, v4, vcc_lo
	v_ashrrev_i32_e32 v3, 31, v2
	v_mul_lo_u32 v4, s10, v5
	v_add_co_u32 v5, vcc_lo, v0, v127
	s_delay_alu instid0(VALU_DEP_1) | instskip(NEXT) | instid1(VALU_DEP_4)
	v_add_co_ci_u32_e64 v6, null, v1, v128, vcc_lo
	v_lshlrev_b64 v[0:1], 1, v[2:3]
	v_add_nc_u32_e32 v2, 0x92, v33
	s_delay_alu instid0(VALU_DEP_4) | instskip(SKIP_2) | instid1(VALU_DEP_4)
	v_add_co_u32 v22, vcc_lo, s16, v5
	v_ashrrev_i32_e32 v5, 31, v4
	v_add_co_ci_u32_e64 v23, null, s17, v6, vcc_lo
	v_mul_lo_u32 v2, s10, v2
	v_add_co_u32 v3, vcc_lo, v0, v127
	s_delay_alu instid0(VALU_DEP_1) | instskip(SKIP_2) | instid1(VALU_DEP_4)
	v_add_co_ci_u32_e64 v6, null, v1, v128, vcc_lo
	v_lshlrev_b64 v[0:1], 1, v[4:5]
	v_add_nc_u32_e32 v4, 0x90, v33
	v_add_co_u32 v24, vcc_lo, s16, v3
	v_ashrrev_i32_e32 v3, 31, v2
	v_add_co_ci_u32_e64 v151, null, s17, v6, vcc_lo
	s_delay_alu instid0(VALU_DEP_4) | instskip(SKIP_1) | instid1(VALU_DEP_1)
	v_mul_lo_u32 v4, s10, v4
	v_add_co_u32 v5, vcc_lo, v0, v127
	v_add_co_ci_u32_e64 v6, null, v1, v128, vcc_lo
	v_lshlrev_b64 v[0:1], 1, v[2:3]
	v_add_nc_u32_e32 v2, 0x8e, v33
	s_delay_alu instid0(VALU_DEP_4) | instskip(SKIP_2) | instid1(VALU_DEP_4)
	v_add_co_u32 v152, vcc_lo, s16, v5
	v_ashrrev_i32_e32 v5, 31, v4
	v_add_co_ci_u32_e64 v153, null, s17, v6, vcc_lo
	v_mul_lo_u32 v2, s10, v2
	v_add_co_u32 v3, vcc_lo, v0, v127
	s_delay_alu instid0(VALU_DEP_1) | instskip(SKIP_2) | instid1(VALU_DEP_4)
	v_add_co_ci_u32_e64 v6, null, v1, v128, vcc_lo
	v_lshlrev_b64 v[0:1], 1, v[4:5]
	v_add_nc_u32_e32 v4, 0x8c, v33
	v_add_co_u32 v154, vcc_lo, s16, v3
	v_ashrrev_i32_e32 v3, 31, v2
	v_add_co_ci_u32_e64 v155, null, s17, v6, vcc_lo
	s_delay_alu instid0(VALU_DEP_4) | instskip(SKIP_1) | instid1(VALU_DEP_1)
	v_mul_lo_u32 v4, s10, v4
	v_add_co_u32 v5, vcc_lo, v0, v127
	v_add_co_ci_u32_e64 v6, null, v1, v128, vcc_lo
	v_lshlrev_b64 v[0:1], 1, v[2:3]
	v_add_nc_u32_e32 v2, 0x8a, v33
	s_delay_alu instid0(VALU_DEP_4) | instskip(SKIP_2) | instid1(VALU_DEP_4)
	v_add_co_u32 v156, vcc_lo, s16, v5
	v_ashrrev_i32_e32 v5, 31, v4
	v_add_co_ci_u32_e64 v157, null, s17, v6, vcc_lo
	v_mul_lo_u32 v2, s10, v2
	v_add_co_u32 v3, vcc_lo, v0, v127
	s_delay_alu instid0(VALU_DEP_1) | instskip(SKIP_2) | instid1(VALU_DEP_4)
	v_add_co_ci_u32_e64 v6, null, v1, v128, vcc_lo
	v_lshlrev_b64 v[0:1], 1, v[4:5]
	v_add_nc_u32_e32 v4, 0x88, v33
	v_add_co_u32 v159, vcc_lo, s16, v3
	v_ashrrev_i32_e32 v3, 31, v2
	v_add_co_ci_u32_e64 v160, null, s17, v6, vcc_lo
	s_delay_alu instid0(VALU_DEP_4) | instskip(SKIP_1) | instid1(VALU_DEP_1)
	v_mul_lo_u32 v4, s10, v4
	v_add_co_u32 v5, vcc_lo, v0, v127
	v_add_co_ci_u32_e64 v6, null, v1, v128, vcc_lo
	v_lshlrev_b64 v[0:1], 1, v[2:3]
	v_add_nc_u32_e32 v2, 0x86, v33
	s_delay_alu instid0(VALU_DEP_4) | instskip(SKIP_2) | instid1(VALU_DEP_4)
	v_add_co_u32 v162, vcc_lo, s16, v5
	v_ashrrev_i32_e32 v5, 31, v4
	v_add_co_ci_u32_e64 v163, null, s17, v6, vcc_lo
	v_mul_lo_u32 v2, s10, v2
	v_add_co_u32 v3, vcc_lo, v0, v127
	s_delay_alu instid0(VALU_DEP_1) | instskip(SKIP_2) | instid1(VALU_DEP_4)
	v_add_co_ci_u32_e64 v6, null, v1, v128, vcc_lo
	v_lshlrev_b64 v[0:1], 1, v[4:5]
	v_add_nc_u32_e32 v4, 0x84, v33
	v_add_co_u32 v164, vcc_lo, s16, v3
	v_ashrrev_i32_e32 v3, 31, v2
	v_add_co_ci_u32_e64 v165, null, s17, v6, vcc_lo
	s_delay_alu instid0(VALU_DEP_4) | instskip(SKIP_1) | instid1(VALU_DEP_1)
	v_mul_lo_u32 v4, s10, v4
	v_add_co_u32 v5, vcc_lo, v0, v127
	v_add_co_ci_u32_e64 v6, null, v1, v128, vcc_lo
	v_lshlrev_b64 v[0:1], 1, v[2:3]
	v_add_nc_u32_e32 v2, 0x82, v33
	s_delay_alu instid0(VALU_DEP_4) | instskip(SKIP_2) | instid1(VALU_DEP_4)
	v_add_co_u32 v166, vcc_lo, s16, v5
	v_ashrrev_i32_e32 v5, 31, v4
	v_add_co_ci_u32_e64 v167, null, s17, v6, vcc_lo
	v_mul_lo_u32 v2, s10, v2
	v_add_co_u32 v3, vcc_lo, v0, v127
	s_delay_alu instid0(VALU_DEP_1) | instskip(SKIP_2) | instid1(VALU_DEP_4)
	v_add_co_ci_u32_e64 v6, null, v1, v128, vcc_lo
	v_lshlrev_b64 v[0:1], 1, v[4:5]
	v_add_nc_u32_e32 v4, 0x80, v33
	v_add_co_u32 v36, vcc_lo, s16, v3
	v_ashrrev_i32_e32 v3, 31, v2
	v_add_co_ci_u32_e64 v168, null, s17, v6, vcc_lo
	s_delay_alu instid0(VALU_DEP_4) | instskip(SKIP_1) | instid1(VALU_DEP_1)
	v_mul_lo_u32 v4, s10, v4
	v_add_co_u32 v5, vcc_lo, v0, v127
	v_add_co_ci_u32_e64 v6, null, v1, v128, vcc_lo
	v_lshlrev_b64 v[0:1], 1, v[2:3]
	v_add3_u32 v2, s14, v238, 0x80
	s_delay_alu instid0(VALU_DEP_4)
	v_add_co_u32 v33, vcc_lo, s16, v5
	v_ashrrev_i32_e32 v5, 31, v4
	v_add_co_ci_u32_e64 v113, null, s17, v6, vcc_lo
	v_add_co_u32 v3, vcc_lo, v0, v127
	v_mul_lo_u32 v2, s10, v2
	v_add_co_ci_u32_e64 v6, null, v1, v128, vcc_lo
	v_lshlrev_b64 v[0:1], 1, v[4:5]
	s_delay_alu instid0(VALU_DEP_4) | instskip(NEXT) | instid1(VALU_DEP_1)
	v_add_co_u32 v171, vcc_lo, s16, v3
	v_add_co_ci_u32_e64 v172, null, s17, v6, vcc_lo
	v_ashrrev_i32_e32 v3, 31, v2
	s_delay_alu instid0(VALU_DEP_4) | instskip(NEXT) | instid1(VALU_DEP_1)
	v_add_co_u32 v0, vcc_lo, v0, v127
	v_add_co_ci_u32_e64 v4, null, v1, v128, vcc_lo
	s_delay_alu instid0(VALU_DEP_3) | instskip(NEXT) | instid1(VALU_DEP_3)
	v_lshlrev_b64 v[1:2], 1, v[2:3]
	v_add_co_u32 v173, vcc_lo, s16, v0
	s_delay_alu instid0(VALU_DEP_1)
	v_add_co_ci_u32_e64 v174, null, s17, v4, vcc_lo
	s_clause 0x1                            ; 16-byte Folded Reload
	scratch_load_b64 v[3:4], off, off offset:1708
	scratch_load_b64 v[5:6], off, off offset:1700
	s_add_u32 s16, s36, s4
	s_addc_u32 s17, s37, s5
	s_add_i32 s3, s3, -1
	s_waitcnt vmcnt(1)
	v_add_co_u32 v3, vcc_lo, v1, v3
	s_delay_alu instid0(VALU_DEP_1) | instskip(SKIP_2) | instid1(VALU_DEP_1)
	v_add_co_ci_u32_e64 v4, null, v2, v4, vcc_lo
	s_waitcnt vmcnt(0)
	v_add_co_u32 v5, vcc_lo, v1, v5
	v_add_co_ci_u32_e64 v6, null, v2, v6, vcc_lo
	v_add_co_u32 v0, vcc_lo, s16, v3
	s_delay_alu instid0(VALU_DEP_1) | instskip(SKIP_2) | instid1(VALU_DEP_1)
	v_add_co_ci_u32_e64 v7, null, s17, v4, vcc_lo
	scratch_load_b64 v[3:4], off, off offset:1692 ; 8-byte Folded Reload
	v_add_co_u32 v8, vcc_lo, s16, v5
	v_add_co_ci_u32_e64 v137, null, s17, v6, vcc_lo
	scratch_load_b64 v[5:6], off, off offset:1684 ; 8-byte Folded Reload
	s_waitcnt vmcnt(1)
	v_add_co_u32 v3, vcc_lo, v1, v3
	s_delay_alu instid0(VALU_DEP_1) | instskip(SKIP_2) | instid1(VALU_DEP_1)
	v_add_co_ci_u32_e64 v4, null, v2, v4, vcc_lo
	s_waitcnt vmcnt(0)
	v_add_co_u32 v5, vcc_lo, v1, v5
	v_add_co_ci_u32_e64 v6, null, v2, v6, vcc_lo
	v_add_co_u32 v139, vcc_lo, s16, v3
	s_delay_alu instid0(VALU_DEP_1) | instskip(SKIP_2) | instid1(VALU_DEP_1)
	v_add_co_ci_u32_e64 v140, null, s17, v4, vcc_lo
	scratch_load_b64 v[3:4], off, off offset:1676 ; 8-byte Folded Reload
	v_add_co_u32 v141, vcc_lo, s16, v5
	v_add_co_ci_u32_e64 v142, null, s17, v6, vcc_lo
	scratch_load_b64 v[5:6], off, off offset:1668 ; 8-byte Folded Reload
	;; [unrolled: 14-line block ×3, first 2 shown]
	s_waitcnt vmcnt(1)
	v_add_co_u32 v3, vcc_lo, v1, v3
	s_delay_alu instid0(VALU_DEP_1) | instskip(SKIP_2) | instid1(VALU_DEP_1)
	v_add_co_ci_u32_e64 v4, null, v2, v4, vcc_lo
	s_waitcnt vmcnt(0)
	v_add_co_u32 v5, vcc_lo, v1, v5
	v_add_co_ci_u32_e64 v6, null, v2, v6, vcc_lo
	v_add_co_u32 v148, vcc_lo, s16, v3
	s_delay_alu instid0(VALU_DEP_1) | instskip(SKIP_2) | instid1(VALU_DEP_1)
	v_add_co_ci_u32_e64 v147, null, s17, v4, vcc_lo
	scratch_load_b64 v[3:4], off, off offset:1644 ; 8-byte Folded Reload
	v_add_co_u32 v114, vcc_lo, s16, v5
	v_add_co_ci_u32_e64 v131, null, s17, v6, vcc_lo
	s_waitcnt vmcnt(0)
	v_add_co_u32 v3, vcc_lo, v1, v3
	s_delay_alu instid0(VALU_DEP_1) | instskip(SKIP_1) | instid1(VALU_DEP_1)
	v_add_co_ci_u32_e64 v4, null, v2, v4, vcc_lo
	v_add_co_u32 v5, vcc_lo, v1, v245
	v_add_co_ci_u32_e64 v6, null, v2, v246, vcc_lo
	s_delay_alu instid0(VALU_DEP_4) | instskip(NEXT) | instid1(VALU_DEP_1)
	v_add_co_u32 v196, vcc_lo, s16, v3
	v_add_co_ci_u32_e64 v198, null, s17, v4, vcc_lo
	s_delay_alu instid0(VALU_DEP_4) | instskip(NEXT) | instid1(VALU_DEP_1)
	v_add_co_u32 v200, vcc_lo, s16, v5
	v_add_co_ci_u32_e64 v121, null, s17, v6, vcc_lo
	v_add_co_u32 v3, vcc_lo, v1, v243
	s_delay_alu instid0(VALU_DEP_1) | instskip(SKIP_1) | instid1(VALU_DEP_1)
	v_add_co_ci_u32_e64 v4, null, v2, v244, vcc_lo
	v_add_co_u32 v5, vcc_lo, v1, v241
	v_add_co_ci_u32_e64 v6, null, v2, v242, vcc_lo
	s_delay_alu instid0(VALU_DEP_4) | instskip(NEXT) | instid1(VALU_DEP_1)
	v_add_co_u32 v197, vcc_lo, s16, v3
	v_add_co_ci_u32_e64 v206, null, s17, v4, vcc_lo
	s_delay_alu instid0(VALU_DEP_4) | instskip(NEXT) | instid1(VALU_DEP_1)
	v_add_co_u32 v195, vcc_lo, s16, v5
	v_add_co_ci_u32_e64 v134, null, s17, v6, vcc_lo
	v_add_co_u32 v3, vcc_lo, v1, v236
	s_delay_alu instid0(VALU_DEP_1) | instskip(SKIP_1) | instid1(VALU_DEP_1)
	v_add_co_ci_u32_e64 v4, null, v2, v237, vcc_lo
	v_add_co_u32 v5, vcc_lo, v1, v234
	v_add_co_ci_u32_e64 v6, null, v2, v235, vcc_lo
	v_mov_b32_e32 v235, v253
	s_clause 0x5                            ; 24-byte Folded Reload
	scratch_load_b32 v236, off, off offset:872
	scratch_load_b32 v237, off, off offset:904
	;; [unrolled: 1-line block ×6, first 2 shown]
	v_add_co_u32 v202, vcc_lo, s16, v3
	s_delay_alu instid0(VALU_DEP_1) | instskip(SKIP_1) | instid1(VALU_DEP_1)
	v_add_co_ci_u32_e64 v203, null, s17, v4, vcc_lo
	v_add_co_u32 v5, vcc_lo, s16, v5
	v_add_co_ci_u32_e64 v6, null, s17, v6, vcc_lo
	v_add_co_u32 v3, vcc_lo, v1, v135
	s_delay_alu instid0(VALU_DEP_1) | instskip(SKIP_1) | instid1(VALU_DEP_1)
	v_add_co_ci_u32_e64 v4, null, v2, v136, vcc_lo
	v_add_co_u32 v1, vcc_lo, v1, v132
	v_add_co_ci_u32_e64 v2, null, v2, v133, vcc_lo
	s_delay_alu instid0(VALU_DEP_4) | instskip(NEXT) | instid1(VALU_DEP_1)
	v_add_co_u32 v3, vcc_lo, s16, v3
	v_add_co_ci_u32_e64 v4, null, s17, v4, vcc_lo
	s_delay_alu instid0(VALU_DEP_4) | instskip(NEXT) | instid1(VALU_DEP_1)
	v_add_co_u32 v1, vcc_lo, s16, v1
	v_add_co_ci_u32_e64 v2, null, s17, v2, vcc_lo
	v_mov_b32_e32 v234, v248
	s_mov_b32 s16, 0x76543210
.LBB0_105:                              ; =>This Inner Loop Header: Depth=1
	.loc	1 72 19                         ; attention_bwd.py:72:19 @[ attention_bwd.py:200:26 ]
	s_clause 0x1f                           ; 320-byte Folded Spill
	scratch_store_b32 off, v62, off offset:836
	scratch_store_b32 off, v37, off offset:788
	;; [unrolled: 1-line block ×14, first 2 shown]
	scratch_store_b128 off, v[185:188], off offset:716
	scratch_store_b128 off, v[189:192], off offset:732
	;; [unrolled: 1-line block ×14, first 2 shown]
	scratch_store_b32 off, v114, off offset:1384
	scratch_store_b128 off, v[177:180], off offset:804
	scratch_store_b128 off, v[181:184], off offset:820
	scratch_store_b32 off, v113, off offset:1380
	s_clause 0x1f                           ; 128-byte Folded Spill
	scratch_store_b32 off, v131, off offset:1376
	scratch_store_b32 off, v171, off offset:1372
	;; [unrolled: 1-line block ×32, first 2 shown]
	s_clause 0xe                            ; 60-byte Folded Spill
	scratch_store_b32 off, v160, off offset:1256
	scratch_store_b32 off, v150, off offset:1252
	scratch_store_b32 off, v167, off offset:1248
	scratch_store_b32 off, v166, off offset:1244
	scratch_store_b32 off, v159, off offset:1240
	scratch_store_b32 off, v157, off offset:1208
	scratch_store_b32 off, v154, off offset:1176
	scratch_store_b32 off, v162, off offset:1172
	scratch_store_b32 off, v21, off offset:1168
	scratch_store_b32 off, v22, off offset:1164
	scratch_store_b32 off, v149, off offset:1132
	scratch_store_b32 off, v23, off offset:1128
	scratch_store_b32 off, v24, off offset:1124
	scratch_store_b32 off, v155, off offset:1120
	scratch_store_b32 off, v153, off offset:1116
	s_clause 0x1                            ; 8-byte Folded Reload
	scratch_load_b32 v1, off, off offset:548
	scratch_load_b32 v2, off, off offset:580
	v_dual_mov_b32 v189, v57 :: v_dual_mov_b32 v190, v58
	v_dual_mov_b32 v191, v59 :: v_dual_mov_b32 v192, v60
	;; [unrolled: 1-line block ×3, first 2 shown]
	v_mov_b32_e32 v188, v40
	v_dual_mov_b32 v109, v196 :: v_dual_mov_b32 v108, v197
	v_dual_mov_b32 v107, v198 :: v_dual_mov_b32 v106, v200
	.loc	1 51 24                         ; attention_bwd.py:51:24 @[ attention_bwd.py:200:26 ]
	s_ashr_i32 s17, s63, 31
	.loc	1 47 25                         ; attention_bwd.py:47:25 @[ attention_bwd.py:200:26 ]
	s_add_i32 s3, s3, -1
	v_dual_mov_b32 v118, v202 :: v_dual_mov_b32 v105, v195
	.loc	1 72 19                         ; attention_bwd.py:72:19 @[ attention_bwd.py:200:26 ]
	s_waitcnt vmcnt(1)
	v_add_co_u32 v1, vcc_lo, v1, s12
	s_waitcnt vmcnt(0)
	v_add_co_ci_u32_e64 v2, null, s13, v2, vcc_lo
	.loc	1 48 21                         ; attention_bwd.py:48:21 @[ attention_bwd.py:200:26 ]
	global_load_u16 v1, v[1:2], off
	.loc	1 72 19                         ; attention_bwd.py:72:19 @[ attention_bwd.py:200:26 ]
	s_waitcnt vmcnt(0)
	scratch_store_b32 off, v1, off offset:1464 ; 4-byte Folded Spill
	v_add_co_u32 v1, vcc_lo, v3, s12
	s_delay_alu instid0(VALU_DEP_1) | instskip(SKIP_4) | instid1(VALU_DEP_1)
	v_add_co_ci_u32_e64 v2, null, s13, v4, vcc_lo
	.loc	1 48 21                         ; attention_bwd.py:48:21 @[ attention_bwd.py:200:26 ]
	global_load_u16 v1, v[1:2], off
	.loc	1 72 19                         ; attention_bwd.py:72:19 @[ attention_bwd.py:200:26 ]
	s_waitcnt vmcnt(0)
	scratch_store_b32 off, v1, off offset:1496 ; 4-byte Folded Spill
	v_add_co_u32 v1, vcc_lo, v5, s12
	v_add_co_ci_u32_e64 v2, null, s13, v6, vcc_lo
	.loc	1 48 21                         ; attention_bwd.py:48:21 @[ attention_bwd.py:200:26 ]
	global_load_u16 v1, v[1:2], off
	.loc	1 72 19                         ; attention_bwd.py:72:19 @[ attention_bwd.py:200:26 ]
	s_waitcnt vmcnt(0)
	scratch_store_b32 off, v1, off offset:1500 ; 4-byte Folded Spill
	v_add_co_u32 v1, vcc_lo, v202, s12
	s_delay_alu instid0(VALU_DEP_1) | instskip(SKIP_4) | instid1(VALU_DEP_1)
	v_add_co_ci_u32_e64 v2, null, s13, v203, vcc_lo
	.loc	1 48 21                         ; attention_bwd.py:48:21 @[ attention_bwd.py:200:26 ]
	global_load_u16 v1, v[1:2], off
	.loc	1 72 19                         ; attention_bwd.py:72:19 @[ attention_bwd.py:200:26 ]
	s_waitcnt vmcnt(0)
	scratch_store_b32 off, v1, off offset:1508 ; 4-byte Folded Spill
	v_add_co_u32 v1, vcc_lo, v195, s12
	;; [unrolled: 15-line block ×4, first 2 shown]
	v_add_co_ci_u32_e64 v2, null, s13, v131, vcc_lo
	v_mov_b32_e32 v131, v203
	.loc	1 48 21                         ; attention_bwd.py:48:21 @[ attention_bwd.py:200:26 ]
	global_load_u16 v1, v[1:2], off
	.loc	1 72 19                         ; attention_bwd.py:72:19 @[ attention_bwd.py:200:26 ]
	s_waitcnt vmcnt(0)
	scratch_store_b32 off, v1, off offset:1548 ; 4-byte Folded Spill
	v_add_co_u32 v1, vcc_lo, v148, s12
	s_delay_alu instid0(VALU_DEP_1) | instskip(SKIP_4) | instid1(VALU_DEP_1)
	v_add_co_ci_u32_e64 v2, null, s13, v147, vcc_lo
	.loc	1 48 21                         ; attention_bwd.py:48:21 @[ attention_bwd.py:200:26 ]
	global_load_u16 v1, v[1:2], off
	.loc	1 72 19                         ; attention_bwd.py:72:19 @[ attention_bwd.py:200:26 ]
	s_waitcnt vmcnt(0)
	scratch_store_b32 off, v1, off offset:1556 ; 4-byte Folded Spill
	v_add_co_u32 v1, vcc_lo, v145, s12
	v_add_co_ci_u32_e64 v2, null, s13, v146, vcc_lo
	.loc	1 52 24                         ; attention_bwd.py:52:24 @[ attention_bwd.py:200:26 ]
	v_dual_mov_b32 v152, s31 :: v_dual_mov_b32 v151, s30
	v_dual_mov_b32 v150, s29 :: v_dual_mov_b32 v149, s28
	.loc	1 48 21                         ; attention_bwd.py:48:21 @[ attention_bwd.py:200:26 ]
	global_load_u16 v1, v[1:2], off
	.loc	1 52 24                         ; attention_bwd.py:52:24 @[ attention_bwd.py:200:26 ]
	v_dual_mov_b32 v148, s27 :: v_dual_mov_b32 v147, s26
	v_dual_mov_b32 v146, s25 :: v_dual_mov_b32 v145, s24
	.loc	1 72 19                         ; attention_bwd.py:72:19 @[ attention_bwd.py:200:26 ]
	s_waitcnt vmcnt(0)
	scratch_store_b32 off, v1, off offset:1564 ; 4-byte Folded Spill
	v_add_co_u32 v1, vcc_lo, v143, s12
	s_delay_alu instid0(VALU_DEP_1) | instskip(SKIP_4) | instid1(VALU_DEP_1)
	v_add_co_ci_u32_e64 v2, null, s13, v144, vcc_lo
	.loc	1 48 21                         ; attention_bwd.py:48:21 @[ attention_bwd.py:200:26 ]
	global_load_u16 v1, v[1:2], off
	.loc	1 72 19                         ; attention_bwd.py:72:19 @[ attention_bwd.py:200:26 ]
	s_waitcnt vmcnt(0)
	scratch_store_b32 off, v1, off offset:1572 ; 4-byte Folded Spill
	v_add_co_u32 v1, vcc_lo, v141, s12
	v_add_co_ci_u32_e64 v2, null, s13, v142, vcc_lo
	.loc	1 48 21                         ; attention_bwd.py:48:21 @[ attention_bwd.py:200:26 ]
	global_load_u16 v1, v[1:2], off
	.loc	1 72 19                         ; attention_bwd.py:72:19 @[ attention_bwd.py:200:26 ]
	s_waitcnt vmcnt(0)
	scratch_store_b32 off, v1, off offset:1580 ; 4-byte Folded Spill
	v_add_co_u32 v1, vcc_lo, v139, s12
	s_delay_alu instid0(VALU_DEP_1) | instskip(SKIP_4) | instid1(VALU_DEP_1)
	v_add_co_ci_u32_e64 v2, null, s13, v140, vcc_lo
	.loc	1 48 21                         ; attention_bwd.py:48:21 @[ attention_bwd.py:200:26 ]
	global_load_u16 v1, v[1:2], off
	.loc	1 72 19                         ; attention_bwd.py:72:19 @[ attention_bwd.py:200:26 ]
	s_waitcnt vmcnt(0)
	scratch_store_b32 off, v1, off offset:1588 ; 4-byte Folded Spill
	v_add_co_u32 v1, vcc_lo, v8, s12
	v_add_co_ci_u32_e64 v2, null, s13, v137, vcc_lo
	.loc	1 48 21                         ; attention_bwd.py:48:21 @[ attention_bwd.py:200:26 ]
	global_load_u16 v1, v[1:2], off
	.loc	1 73 19                         ; attention_bwd.py:73:19 @[ attention_bwd.py:200:26 ]
	s_waitcnt vmcnt(0)
	scratch_store_b32 off, v1, off offset:1596 ; 4-byte Folded Spill
	v_add_co_u32 v1, vcc_lo, v0, s12
	s_delay_alu instid0(VALU_DEP_1)
	v_add_co_ci_u32_e64 v2, null, s13, v7, vcc_lo
	.loc	1 48 21                         ; attention_bwd.py:48:21 @[ attention_bwd.py:200:26 ]
	global_load_u16 v0, v[1:2], off
	.loc	1 69 26                         ; attention_bwd.py:69:26 @[ attention_bwd.py:200:26 ]
	s_waitcnt vmcnt(0)
	scratch_store_b32 off, v0, off offset:1604 ; 4-byte Folded Spill
	s_waitcnt lgkmcnt(0)
	s_waitcnt_vscnt null, 0x0
	s_barrier
	buffer_gl0_inv
	s_clause 0xf                            ; 256-byte Folded Reload
	scratch_load_b128 v[81:84], off, off offset:164
	scratch_load_b128 v[85:88], off, off offset:180
	;; [unrolled: 1-line block ×16, first 2 shown]
	.loc	1 48 21                         ; attention_bwd.py:48:21 @[ attention_bwd.py:200:26 ]
	ds_load_u16 v143, v240 offset:768
	ds_load_u16 v137, v240
	ds_load_u16 v138, v240 offset:128
	ds_load_u16 v139, v240 offset:256
	;; [unrolled: 1-line block ×19, first 2 shown]
	s_waitcnt lgkmcnt(9)
	ds_load_u16_d16_hi v243, v240 offset:1376
	ds_load_u16 v144, v240 offset:896
	ds_load_u16 v161, v240 offset:2080
	s_waitcnt lgkmcnt(0)
	ds_load_u16_d16_hi v161, v240 offset:2144
	ds_load_u16 v222, v240 offset:1664
	ds_load_u16_d16_hi v142, v240 offset:704
	ds_load_u16_d16_hi v5, v240 offset:608
	ds_load_u16 v1, v240 offset:32
	ds_load_u16_d16_hi v137, v240 offset:64
	ds_load_u16_d16_hi v138, v240 offset:192
	ds_load_u16 v3, v240 offset:288
	ds_load_u16 v2, v240 offset:160
	;; [unrolled: 1-line block ×3, first 2 shown]
	ds_load_u16_d16_hi v143, v240 offset:832
	ds_load_u16 v7, v240 offset:800
	ds_load_u16_d16_hi v217, v240 offset:1088
	ds_load_u16_d16_hi v218, v240 offset:1216
	;; [unrolled: 1-line block ×4, first 2 shown]
	ds_load_u16 v244, v240 offset:1440
	ds_load_u16_d16_hi v221, v240 offset:1600
	ds_load_u16 v245, v240 offset:1568
	ds_load_u16_d16_hi v141, v240 offset:576
	ds_load_u16_d16_hi v139, v240 offset:320
	;; [unrolled: 1-line block ×6, first 2 shown]
	ds_load_u16 v162, v240 offset:2208
	ds_load_u16_d16_hi v144, v240 offset:960
	ds_load_u16 v241, v240 offset:1056
	ds_load_u16 v8, v240 offset:928
	s_waitcnt lgkmcnt(27)
	ds_load_u16_d16_hi v222, v240 offset:1728
	ds_load_u16 v247, v240 offset:1824
	ds_load_u16 v246, v240 offset:1696
	s_waitcnt lgkmcnt(27)
	ds_load_u16_d16_hi v1, v240 offset:96
	s_waitcnt lgkmcnt(25)
	ds_load_u16_d16_hi v3, v240 offset:352
	;; [unrolled: 2-line block ×3, first 2 shown]
	ds_load_u16_d16_hi v242, v240 offset:1248
	s_waitcnt lgkmcnt(26)
	ds_load_u16_d16_hi v6, v240 offset:736
	s_waitcnt lgkmcnt(25)
	ds_load_u16_d16_hi v7, v240 offset:864
	ds_load_u16_d16_hi v248, v240 offset:2016
	s_waitcnt lgkmcnt(22)
	ds_load_u16_d16_hi v244, v240 offset:1504
	s_waitcnt lgkmcnt(21)
	ds_load_u16_d16_hi v245, v240 offset:1632
	s_clause 0xd                            ; 224-byte Folded Reload
	scratch_load_b128 v[9:12], off, off offset:748
	scratch_load_b128 v[13:16], off, off offset:764
	;; [unrolled: 1-line block ×14, first 2 shown]
	s_waitcnt lgkmcnt(13)
	ds_load_u16_d16_hi v241, v240 offset:1120
	s_waitcnt lgkmcnt(13)
	ds_load_u16_d16_hi v8, v240 offset:992
	;; [unrolled: 2-line block ×4, first 2 shown]
	.loc	1 52 24                         ; attention_bwd.py:52:24 @[ attention_bwd.py:200:26 ]
	s_waitcnt vmcnt(28)
	v_wmma_f32_16x16x16_f16 v[225:232], v[137:144], v[81:88], v[145:152]
	s_waitcnt vmcnt(26)
	v_wmma_f32_16x16x16_f16 v[169:176], v[137:144], v[73:80], v[145:152]
	.loc	1 48 21                         ; attention_bwd.py:48:21 @[ attention_bwd.py:200:26 ]
	ds_load_u16 v137, v240 offset:3072
	ds_load_u16 v167, v240 offset:2848
	;; [unrolled: 1-line block ×8, first 2 shown]
	s_waitcnt lgkmcnt(6)
	ds_load_u16_d16_hi v167, v240 offset:2912
	ds_load_u16 v156, v240 offset:2432
	ds_load_u16_d16_hi v153, v240 offset:2112
	s_waitcnt lgkmcnt(8)
	ds_load_u16_d16_hi v154, v240 offset:2240
	ds_load_u16_d16_hi v155, v240 offset:2368
	ds_load_u16 v163, v240 offset:2336
	s_waitcnt lgkmcnt(10)
	ds_load_u16_d16_hi v157, v240 offset:2624
	s_waitcnt lgkmcnt(10)
	ds_load_u16_d16_hi v158, v240 offset:2752
	;; [unrolled: 2-line block ×4, first 2 shown]
	ds_load_u16 v168, v240 offset:2976
	ds_load_u16 v165, v240 offset:2592
	;; [unrolled: 1-line block ×3, first 2 shown]
	s_waitcnt lgkmcnt(11)
	ds_load_u16_d16_hi v156, v240 offset:2496
	ds_load_u16_d16_hi v162, v240 offset:2272
	s_waitcnt lgkmcnt(9)
	ds_load_u16_d16_hi v163, v240 offset:2400
	ds_load_u16_d16_hi v166, v240 offset:2784
	s_waitcnt lgkmcnt(5)
	ds_load_u16_d16_hi v165, v240 offset:2656
	s_waitcnt lgkmcnt(5)
	ds_load_u16_d16_hi v164, v240 offset:2528
	.loc	1 52 24                         ; attention_bwd.py:52:24 @[ attention_bwd.py:200:26 ]
	s_waitcnt vmcnt(24)
	v_wmma_f32_16x16x16_f16 v[225:232], v[217:224], v[57:64], v[225:232]
	s_waitcnt vmcnt(22)
	v_wmma_f32_16x16x16_f16 v[169:176], v[217:224], v[65:72], v[169:176]
	.loc	1 48 21                         ; attention_bwd.py:48:21 @[ attention_bwd.py:200:26 ]
	ds_load_u16_d16_hi v168, v240 offset:3040
	.loc	1 52 24                         ; attention_bwd.py:52:24 @[ attention_bwd.py:200:26 ]
	s_waitcnt vmcnt(20) lgkmcnt(6)
	v_wmma_f32_16x16x16_f16 v[225:232], v[153:160], v[41:48], v[225:232]
	s_waitcnt vmcnt(18)
	v_wmma_f32_16x16x16_f16 v[169:176], v[153:160], v[49:56], v[169:176]
	.loc	1 48 21                         ; attention_bwd.py:48:21 @[ attention_bwd.py:200:26 ]
	ds_load_u16 v139, v240 offset:3328
	ds_load_u16 v140, v240 offset:3456
	;; [unrolled: 1-line block ×8, first 2 shown]
	s_waitcnt lgkmcnt(1)
	ds_load_u16_d16_hi v157, v240 offset:3680
	ds_load_u16 v138, v240 offset:3200
	ds_load_u16_d16_hi v139, v240 offset:3392
	ds_load_u16_d16_hi v140, v240 offset:3520
	;; [unrolled: 1-line block ×4, first 2 shown]
	ds_load_u16 v158, v240 offset:3744
	.loc	1 58 21                         ; attention_bwd.py:58:21 @[ attention_bwd.py:200:26 ]
	ds_load_u16 v217, v240 offset:4192
	ds_load_u16 v219, v240 offset:4096
	.loc	1 48 21                         ; attention_bwd.py:48:21 @[ attention_bwd.py:200:26 ]
	ds_load_u16_d16_hi v143, v240 offset:3904
	ds_load_u16 v159, v240 offset:3872
	ds_load_u16_d16_hi v144, v240 offset:4032
	.loc	1 58 21                         ; attention_bwd.py:58:21 @[ attention_bwd.py:200:26 ]
	s_waitcnt lgkmcnt(4)
	ds_load_u16_d16_hi v217, v240 offset:4320
	ds_load_u16 v177, v240 offset:4128
	.loc	1 48 21                         ; attention_bwd.py:48:21 @[ attention_bwd.py:200:26 ]
	ds_load_u16 v160, v240 offset:4000
	ds_load_u16_d16_hi v137, v240 offset:3136
	ds_load_u16 v153, v240 offset:3104
	ds_load_u16 v155, v240 offset:3360
	;; [unrolled: 1-line block ×3, first 2 shown]
	ds_load_u16_d16_hi v138, v240 offset:3264
	ds_load_u16_d16_hi v156, v240 offset:3552
	s_waitcnt lgkmcnt(4)
	ds_load_u16_d16_hi v153, v240 offset:3168
	s_waitcnt lgkmcnt(4)
	;; [unrolled: 2-line block ×3, first 2 shown]
	ds_load_u16_d16_hi v154, v240 offset:3296
	.loc	1 52 24                         ; attention_bwd.py:52:24 @[ attention_bwd.py:200:26 ]
	s_waitcnt vmcnt(16) lgkmcnt(4)
	v_wmma_f32_16x16x16_f16 v[225:232], v[137:144], v[17:24], v[225:232]
	s_waitcnt vmcnt(14)
	v_wmma_f32_16x16x16_f16 v[169:176], v[137:144], v[33:40], v[169:176]
	v_dual_mov_b32 v137, v235 :: v_dual_mov_b32 v138, v234
	v_dual_mov_b32 v139, v237 :: v_dual_mov_b32 v142, v238
	v_mov_b32_e32 v143, v253
	s_delay_alu instid0(VALU_DEP_3) | instskip(SKIP_2) | instid1(VALU_DEP_3)
	.loc	1 53 32                         ; attention_bwd.py:53:32 @[ attention_bwd.py:200:26 ]
	v_dual_sub_f32 v178, v225, v137 :: v_dual_sub_f32 v179, v226, v138
	v_dual_mov_b32 v140, v236 :: v_dual_mov_b32 v141, v249
	v_mov_b32_e32 v144, v250
	.loc	1 53 26 is_stmt 0               ; attention_bwd.py:53:26 @[ attention_bwd.py:200:26 ]
	v_exp_f32_e32 v237, v178
	s_delay_alu instid0(VALU_DEP_3) | instskip(SKIP_4) | instid1(VALU_DEP_4)
	v_exp_f32_e32 v238, v179
	.loc	1 53 32                         ; attention_bwd.py:53:32 @[ attention_bwd.py:200:26 ]
	v_dual_sub_f32 v180, v227, v139 :: v_dual_sub_f32 v183, v230, v142
	v_dual_sub_f32 v181, v228, v140 :: v_dual_sub_f32 v184, v231, v143
	;; [unrolled: 1-line block ×3, first 2 shown]
	v_sub_f32_e32 v171, v171, v139
	.loc	1 53 26                         ; attention_bwd.py:53:26 @[ attention_bwd.py:200:26 ]
	v_exp_f32_e32 v0, v180
	s_delay_alu instid0(TRANS32_DEP_3) | instskip(NEXT) | instid1(TRANS32_DEP_2)
	.loc	1 61 21 is_stmt 1               ; attention_bwd.py:61:21 @[ attention_bwd.py:200:26 ]
	v_cvt_f16_f32_e64 v137, v237
	v_cvt_f16_f32_e64 v138, v238
	.loc	1 53 26                         ; attention_bwd.py:53:26 @[ attention_bwd.py:200:26 ]
	v_exp_f32_e32 v135, v181
	.loc	1 53 32 is_stmt 0               ; attention_bwd.py:53:32 @[ attention_bwd.py:200:26 ]
	v_dual_sub_f32 v182, v229, v141 :: v_dual_sub_f32 v185, v232, v144
	v_dual_sub_f32 v172, v172, v140 :: v_dual_sub_f32 v173, v173, v141
	s_delay_alu instid0(VALU_DEP_3) | instskip(NEXT) | instid1(VALU_DEP_3)
	.loc	1 61 21 is_stmt 1               ; attention_bwd.py:61:21 @[ attention_bwd.py:200:26 ]
	v_pack_b32_f16 v138, v137, v138
	.loc	1 53 26                         ; attention_bwd.py:53:26 @[ attention_bwd.py:200:26 ]
	v_exp_f32_e32 v249, v182
	v_exp_f32_e32 v250, v183
	.loc	1 53 32 is_stmt 0               ; attention_bwd.py:53:32 @[ attention_bwd.py:200:26 ]
	v_dual_sub_f32 v174, v174, v142 :: v_dual_sub_f32 v175, v175, v143
	s_delay_alu instid0(VALU_DEP_2) | instskip(NEXT) | instid1(TRANS32_DEP_3)
	.loc	1 61 21 is_stmt 1               ; attention_bwd.py:61:21 @[ attention_bwd.py:200:26 ]
	v_permlanex16_b32 v139, v138, s16, 0xfedcba98 op_sel:[1,0]
	v_cvt_f16_f32_e64 v140, v135
	.loc	1 53 26                         ; attention_bwd.py:53:26 @[ attention_bwd.py:200:26 ]
	v_exp_f32_e32 v136, v184
	v_exp_f32_e32 v133, v185
	;; [unrolled: 1-line block ×3, first 2 shown]
	.loc	1 61 21                         ; attention_bwd.py:61:21 @[ attention_bwd.py:200:26 ]
	v_perm_b32 v137, v139, v138, v129
	v_perm_b32 v138, v139, v138, v254
	v_cvt_f16_f32_e64 v139, v0
	v_cvt_f16_f32_e64 v142, v250
	.loc	1 53 26                         ; attention_bwd.py:53:26 @[ attention_bwd.py:200:26 ]
	v_exp_f32_e32 v132, v170
	.loc	1 53 32 is_stmt 0               ; attention_bwd.py:53:32 @[ attention_bwd.py:200:26 ]
	v_sub_f32_e32 v176, v176, v144
	.loc	1 53 26                         ; attention_bwd.py:53:26 @[ attention_bwd.py:200:26 ]
	v_exp_f32_e32 v236, v171
	.loc	1 61 21 is_stmt 1               ; attention_bwd.py:61:21 @[ attention_bwd.py:200:26 ]
	v_pack_b32_f16 v140, v139, v140
	v_cvt_f16_f32_e64 v144, v133
	.loc	1 53 26                         ; attention_bwd.py:53:26 @[ attention_bwd.py:200:26 ]
	v_exp_f32_e32 v193, v172
	.loc	1 61 21                         ; attention_bwd.py:61:21 @[ attention_bwd.py:200:26 ]
	v_cvt_f16_f32_e64 v169, v253
	.loc	1 53 26                         ; attention_bwd.py:53:26 @[ attention_bwd.py:200:26 ]
	v_exp_f32_e32 v194, v173
	.loc	1 61 21                         ; attention_bwd.py:61:21 @[ attention_bwd.py:200:26 ]
	v_permlanex16_b32 v141, v140, s16, 0xfedcba98 op_sel:[1,0]
	.loc	1 53 26                         ; attention_bwd.py:53:26 @[ attention_bwd.py:200:26 ]
	v_exp_f32_e32 v195, v174
	.loc	1 61 21                         ; attention_bwd.py:61:21 @[ attention_bwd.py:200:26 ]
	v_cvt_f16_f32_e64 v170, v132
	.loc	1 53 26                         ; attention_bwd.py:53:26 @[ attention_bwd.py:200:26 ]
	v_exp_f32_e32 v196, v175
	.loc	1 61 21                         ; attention_bwd.py:61:21 @[ attention_bwd.py:200:26 ]
	v_cvt_f16_f32_e64 v171, v236
	v_perm_b32 v139, v141, v140, v129
	v_perm_b32 v140, v141, v140, v254
	v_cvt_f16_f32_e64 v141, v249
	v_pack_b32_f16 v170, v169, v170
	v_cvt_f16_f32_e64 v172, v193
	.loc	1 53 26                         ; attention_bwd.py:53:26 @[ attention_bwd.py:200:26 ]
	v_exp_f32_e32 v197, v176
	.loc	1 61 21                         ; attention_bwd.py:61:21 @[ attention_bwd.py:200:26 ]
	v_cvt_f16_f32_e64 v173, v194
	v_pack_b32_f16 v142, v141, v142
	v_cvt_f16_f32_e64 v174, v195
	v_pack_b32_f16 v172, v171, v172
	v_cvt_f16_f32_e64 v175, v196
	.loc	1 58 21                         ; attention_bwd.py:58:21 @[ attention_bwd.py:200:26 ]
	ds_load_u16 v221, v240 offset:4608
	ds_load_u16 v222, v240 offset:4864
	;; [unrolled: 1-line block ×8, first 2 shown]
	ds_load_u16_d16_hi v219, v240 offset:4224
	.loc	1 61 21                         ; attention_bwd.py:61:21 @[ attention_bwd.py:200:26 ]
	v_permlanex16_b32 v143, v142, s16, 0xfedcba98 op_sel:[1,0]
	v_pack_b32_f16 v174, v173, v174
	.loc	1 58 21                         ; attention_bwd.py:58:21 @[ attention_bwd.py:200:26 ]
	ds_load_u16 v179, v240 offset:4640
	.loc	1 61 21                         ; attention_bwd.py:61:21 @[ attention_bwd.py:200:26 ]
	v_cvt_f16_f32_e64 v176, v197
	v_perm_b32 v141, v143, v142, v129
	v_perm_b32 v142, v143, v142, v254
	v_cvt_f16_f32_e64 v143, v136
	s_delay_alu instid0(VALU_DEP_4) | instskip(NEXT) | instid1(VALU_DEP_2)
	v_pack_b32_f16 v176, v175, v176
	v_pack_b32_f16 v144, v143, v144
	s_delay_alu instid0(VALU_DEP_1) | instskip(NEXT) | instid1(VALU_DEP_1)
	v_permlanex16_b32 v178, v144, s16, 0xfedcba98 op_sel:[1,0]
	v_perm_b32 v143, v178, v144, v129
	v_perm_b32 v144, v178, v144, v254
	v_permlanex16_b32 v178, v170, s16, 0xfedcba98 op_sel:[1,0]
	s_delay_alu instid0(VALU_DEP_1) | instskip(SKIP_2) | instid1(VALU_DEP_1)
	v_perm_b32 v169, v178, v170, v129
	v_perm_b32 v170, v178, v170, v254
	v_permlanex16_b32 v178, v172, s16, 0xfedcba98 op_sel:[1,0]
	v_perm_b32 v171, v178, v172, v129
	v_perm_b32 v172, v178, v172, v254
	v_permlanex16_b32 v178, v174, s16, 0xfedcba98 op_sel:[1,0]
	s_delay_alu instid0(VALU_DEP_1) | instskip(SKIP_2) | instid1(VALU_DEP_1)
	v_perm_b32 v173, v178, v174, v129
	v_perm_b32 v174, v178, v174, v254
	v_permlanex16_b32 v178, v176, s16, 0xfedcba98 op_sel:[1,0]
	v_perm_b32 v175, v178, v176, v129
	s_clause 0x1                            ; 32-byte Folded Reload
	scratch_load_b128 v[122:125], off, off offset:988
	scratch_load_b128 v[126:129], off, off offset:1004
	v_perm_b32 v176, v178, v176, v254
	.loc	1 58 21                         ; attention_bwd.py:58:21 @[ attention_bwd.py:200:26 ]
	s_waitcnt lgkmcnt(9)
	ds_load_u16_d16_hi v221, v240 offset:4736
	s_waitcnt lgkmcnt(9)
	ds_load_u16_d16_hi v222, v240 offset:4992
	s_waitcnt lgkmcnt(9)
	ds_load_u16_d16_hi v223, v240 offset:5248
	s_waitcnt lgkmcnt(9)
	ds_load_u16_d16_hi v224, v240 offset:5504
	s_waitcnt lgkmcnt(9)
	ds_load_u16_d16_hi v225, v240 offset:5760
	s_waitcnt lgkmcnt(9)
	ds_load_u16_d16_hi v220, v240 offset:4480
	s_waitcnt lgkmcnt(9)
	ds_load_u16_d16_hi v226, v240 offset:6016
	ds_load_u16 v180, v240 offset:4896
	ds_load_u16 v181, v240 offset:5152
	s_waitcnt lgkmcnt(11)
	ds_load_u16_d16_hi v218, v240 offset:4576
	ds_load_u16 v178, v240 offset:4384
	ds_load_u16 v182, v240 offset:5408
	;; [unrolled: 1-line block ×5, first 2 shown]
	s_waitcnt lgkmcnt(15)
	ds_load_u16_d16_hi v179, v240 offset:4768
	ds_load_u16_d16_hi v177, v240 offset:4256
	s_waitcnt lgkmcnt(9)
	ds_load_u16_d16_hi v180, v240 offset:5024
	s_waitcnt lgkmcnt(9)
	;; [unrolled: 2-line block ×6, first 2 shown]
	ds_load_u16_d16_hi v184, v240 offset:6048
	ds_load_u16 v228, v240 offset:4160
	ds_load_u16 v230, v240 offset:4672
	ds_load_u16 v231, v240 offset:4928
	ds_load_u16 v232, v240 offset:5184
	ds_load_u16 v233, v240 offset:5440
	ds_load_u16 v234, v240 offset:5696
	ds_load_u16 v185, v240 offset:6176
	ds_load_u16 v235, v240 offset:5952
	ds_load_u16 v229, v240 offset:4416
	.loc	1 62 26                         ; attention_bwd.py:62:26 @[ attention_bwd.py:200:26 ]
	s_waitcnt vmcnt(14)
	v_wmma_f32_16x16x16_f16 v[9:16], v[219:226], v[137:144], v[9:16]
	s_waitcnt vmcnt(12)
	v_wmma_f32_16x16x16_f16 v[97:104], v[219:226], v[169:176], v[97:104]
	s_waitcnt vmcnt(10) lgkmcnt(9)
	v_wmma_f32_16x16x16_f16 v[25:32], v[177:184], v[169:176], v[25:32]
	s_waitcnt vmcnt(0)
	v_wmma_f32_16x16x16_f16 v[122:129], v[177:184], v[137:144], v[122:129]
	.loc	1 48 21                         ; attention_bwd.py:48:21 @[ attention_bwd.py:200:26 ]
	ds_load_u16_d16_hi v158, v240 offset:3808
	ds_load_u16_d16_hi v159, v240 offset:3936
	;; [unrolled: 1-line block ×3, first 2 shown]
	.loc	1 58 21                         ; attention_bwd.py:58:21 @[ attention_bwd.py:200:26 ]
	s_waitcnt lgkmcnt(11)
	ds_load_u16_d16_hi v228, v240 offset:4288
	s_waitcnt lgkmcnt(11)
	ds_load_u16_d16_hi v230, v240 offset:4800
	;; [unrolled: 2-line block ×8, first 2 shown]
	ds_load_u16 v219, v240 offset:4704
	ds_load_u16 v220, v240 offset:4960
	ds_load_u16 v221, v240 offset:5216
	ds_load_u16 v222, v240 offset:5472
	ds_load_u16 v223, v240 offset:5728
	ds_load_u16 v177, v240 offset:6208
	ds_load_u16 v224, v240 offset:5984
	s_waitcnt lgkmcnt(6)
	ds_load_u16_d16_hi v219, v240 offset:4832
	s_waitcnt lgkmcnt(6)
	ds_load_u16_d16_hi v220, v240 offset:5088
	;; [unrolled: 2-line block ×6, first 2 shown]
	ds_load_u16 v225, v240 offset:6240
	.loc	1 62 26                         ; attention_bwd.py:62:26 @[ attention_bwd.py:200:26 ]
	v_wmma_f32_16x16x16_f16 v[198:205], v[228:235], v[137:144], v[198:205]
	v_wmma_f32_16x16x16_f16 v[110:117], v[228:235], v[169:176], v[110:117]
	.loc	1 58 21                         ; attention_bwd.py:58:21 @[ attention_bwd.py:200:26 ]
	ds_load_u16 v228, v240 offset:6400
	ds_load_u16 v229, v240 offset:6656
	;; [unrolled: 1-line block ×7, first 2 shown]
	ds_load_u16_d16_hi v227, v240 offset:6272
	.loc	1 62 26                         ; attention_bwd.py:62:26 @[ attention_bwd.py:200:26 ]
	s_waitcnt lgkmcnt(9)
	v_wmma_f32_16x16x16_f16 v[89:96], v[217:224], v[137:144], v[89:96]
	.loc	1 52 24                         ; attention_bwd.py:52:24 @[ attention_bwd.py:200:26 ]
	v_wmma_f32_16x16x16_f16 v[137:144], v[1:8], v[81:88], v[145:152]
	.loc	1 62 26                         ; attention_bwd.py:62:26 @[ attention_bwd.py:200:26 ]
	;; [unrolled: 2-line block ×3, first 2 shown]
	v_wmma_f32_16x16x16_f16 v[169:176], v[1:8], v[73:80], v[145:152]
	s_delay_alu instid0(VALU_DEP_3) | instskip(SKIP_1) | instid1(VALU_DEP_3)
	v_wmma_f32_16x16x16_f16 v[137:144], v[241:248], v[57:64], v[137:144]
	v_dual_mov_b32 v1, v186 :: v_dual_mov_b32 v4, v187
	v_wmma_f32_16x16x16_f16 v[169:176], v[241:248], v[65:72], v[169:176]
	v_dual_mov_b32 v3, v188 :: v_dual_mov_b32 v6, v189
	s_delay_alu instid0(VALU_DEP_4)
	v_wmma_f32_16x16x16_f16 v[137:144], v[161:168], v[41:48], v[137:144]
	.loc	1 61 21                         ; attention_bwd.py:61:21 @[ attention_bwd.py:200:26 ]
	scratch_load_b32 v57, off, off          ; 4-byte Folded Reload
	.loc	1 52 24                         ; attention_bwd.py:52:24 @[ attention_bwd.py:200:26 ]
	v_wmma_f32_16x16x16_f16 v[169:176], v[161:168], v[49:56], v[169:176]
	v_dual_mov_b32 v5, v190 :: v_dual_mov_b32 v8, v191
	v_wmma_f32_16x16x16_f16 v[137:144], v[153:160], v[17:24], v[137:144]
	v_mov_b32_e32 v7, v192
	s_delay_alu instid0(VALU_DEP_4)
	v_wmma_f32_16x16x16_f16 v[169:176], v[153:160], v[33:40], v[169:176]
	.loc	1 58 21                         ; attention_bwd.py:58:21 @[ attention_bwd.py:200:26 ]
	s_waitcnt lgkmcnt(7)
	ds_load_u16_d16_hi v228, v240 offset:6528
	s_waitcnt lgkmcnt(7)
	ds_load_u16_d16_hi v229, v240 offset:6784
	;; [unrolled: 2-line block ×7, first 2 shown]
	ds_load_u16 v186, v240 offset:6432
	ds_load_u16 v187, v240 offset:6688
	;; [unrolled: 1-line block ×7, first 2 shown]
	ds_load_u16_d16_hi v185, v240 offset:6304
	s_waitcnt lgkmcnt(7)
	ds_load_u16_d16_hi v186, v240 offset:6560
	s_waitcnt lgkmcnt(7)
	;; [unrolled: 2-line block ×7, first 2 shown]
	ds_load_u16_d16_hi v192, v240 offset:8096
	ds_load_u16 v178, v240 offset:6464
	ds_load_u16 v179, v240 offset:6720
	;; [unrolled: 1-line block ×7, first 2 shown]
	.loc	1 53 32                         ; attention_bwd.py:53:32 @[ attention_bwd.py:200:26 ]
	v_dual_sub_f32 v137, v137, v1 :: v_dual_sub_f32 v140, v140, v4
	v_dual_sub_f32 v138, v138, v130 :: v_dual_sub_f32 v153, v169, v1
	v_sub_f32_e32 v156, v172, v4
	s_delay_alu instid0(VALU_DEP_3) | instskip(SKIP_1) | instid1(VALU_DEP_3)
	.loc	1 53 26 is_stmt 0               ; attention_bwd.py:53:26 @[ attention_bwd.py:200:26 ]
	v_exp_f32_e32 v217, v137
	.loc	1 53 32                         ; attention_bwd.py:53:32 @[ attention_bwd.py:200:26 ]
	v_dual_sub_f32 v139, v139, v3 :: v_dual_sub_f32 v142, v142, v6
	.loc	1 53 26                         ; attention_bwd.py:53:26 @[ attention_bwd.py:200:26 ]
	v_exp_f32_e32 v218, v138
	v_exp_f32_e32 v220, v140
	.loc	1 53 32                         ; attention_bwd.py:53:32 @[ attention_bwd.py:200:26 ]
	v_dual_sub_f32 v155, v171, v3 :: v_dual_sub_f32 v158, v174, v6
	s_delay_alu instid0(VALU_DEP_2)
	.loc	1 53 26                         ; attention_bwd.py:53:26 @[ attention_bwd.py:200:26 ]
	v_exp_f32_e32 v219, v139
	.loc	1 53 32                         ; attention_bwd.py:53:32 @[ attention_bwd.py:200:26 ]
	v_dual_sub_f32 v141, v141, v5 :: v_dual_sub_f32 v144, v144, v8
	.loc	1 61 21 is_stmt 1               ; attention_bwd.py:61:21 @[ attention_bwd.py:200:26 ]
	v_cvt_f16_f32_e64 v1, v217
	.loc	1 53 26                         ; attention_bwd.py:53:26 @[ attention_bwd.py:200:26 ]
	v_exp_f32_e32 v222, v142
	.loc	1 53 32 is_stmt 0               ; attention_bwd.py:53:32 @[ attention_bwd.py:200:26 ]
	v_dual_sub_f32 v157, v173, v5 :: v_dual_sub_f32 v160, v176, v8
	.loc	1 61 21 is_stmt 1               ; attention_bwd.py:61:21 @[ attention_bwd.py:200:26 ]
	v_cvt_f16_f32_e64 v2, v218
	s_delay_alu instid0(TRANS32_DEP_3) | instskip(SKIP_2) | instid1(VALU_DEP_3)
	v_cvt_f16_f32_e64 v4, v220
	.loc	1 53 26                         ; attention_bwd.py:53:26 @[ attention_bwd.py:200:26 ]
	v_exp_f32_e32 v221, v141
	.loc	1 53 32 is_stmt 0               ; attention_bwd.py:53:32 @[ attention_bwd.py:200:26 ]
	v_dual_sub_f32 v143, v143, v7 :: v_dual_sub_f32 v154, v170, v130
	.loc	1 61 21 is_stmt 1               ; attention_bwd.py:61:21 @[ attention_bwd.py:200:26 ]
	v_pack_b32_f16 v2, v1, v2
	scratch_load_b32 v1, off, off           ; 4-byte Folded Reload
	v_cvt_f16_f32_e64 v6, v222
	.loc	1 53 26                         ; attention_bwd.py:53:26 @[ attention_bwd.py:200:26 ]
	v_exp_f32_e32 v223, v143
	v_exp_f32_e32 v224, v144
	.loc	1 61 21                         ; attention_bwd.py:61:21 @[ attention_bwd.py:200:26 ]
	v_permlanex16_b32 v3, v2, s16, 0xfedcba98 op_sel:[1,0]
	.loc	1 53 32                         ; attention_bwd.py:53:32 @[ attention_bwd.py:200:26 ]
	v_sub_f32_e32 v159, v175, v7
	.loc	1 53 26 is_stmt 0               ; attention_bwd.py:53:26 @[ attention_bwd.py:200:26 ]
	v_exp_f32_e32 v235, v153
	v_exp_f32_e32 v241, v154
	;; [unrolled: 1-line block ×7, first 2 shown]
	.loc	1 61 21 is_stmt 1               ; attention_bwd.py:61:21 @[ attention_bwd.py:200:26 ]
	v_cvt_f16_f32_e64 v8, v224
	.loc	1 53 26                         ; attention_bwd.py:53:26 @[ attention_bwd.py:200:26 ]
	v_exp_f32_e32 v247, v160
	s_clause 0x3                            ; 64-byte Folded Reload
	scratch_load_b128 v[81:84], off, off offset:260
	scratch_load_b128 v[85:88], off, off offset:276
	;; [unrolled: 1-line block ×4, first 2 shown]
	.loc	1 61 21                         ; attention_bwd.py:61:21 @[ attention_bwd.py:200:26 ]
	v_cvt_f16_f32_e64 v138, v241
	scratch_load_b32 v130, off, off offset:1616 ; 4-byte Folded Reload
	v_cvt_f16_f32_e64 v140, v243
	scratch_load_b32 v19, off, off offset:1628 ; 4-byte Folded Reload
	v_cvt_f16_f32_e64 v142, v245
	v_cvt_f16_f32_e64 v144, v247
	s_waitcnt vmcnt(6)
	v_perm_b32 v1, v3, v2, v1
	v_perm_b32 v2, v3, v2, v254
	v_cvt_f16_f32_e64 v3, v219
	s_delay_alu instid0(VALU_DEP_1) | instskip(SKIP_3) | instid1(VALU_DEP_1)
	v_pack_b32_f16 v4, v3, v4
	scratch_load_b32 v3, off, off           ; 4-byte Folded Reload
	v_permlanex16_b32 v5, v4, s16, 0xfedcba98 op_sel:[1,0]
	s_waitcnt vmcnt(0)
	v_perm_b32 v3, v5, v4, v3
	v_perm_b32 v4, v5, v4, v254
	v_cvt_f16_f32_e64 v5, v221
	s_delay_alu instid0(VALU_DEP_1) | instskip(SKIP_3) | instid1(VALU_DEP_1)
	v_pack_b32_f16 v6, v5, v6
	scratch_load_b32 v5, off, off           ; 4-byte Folded Reload
	v_permlanex16_b32 v7, v6, s16, 0xfedcba98 op_sel:[1,0]
	;; [unrolled: 8-line block ×3, first 2 shown]
	s_waitcnt vmcnt(0)
	v_perm_b32 v7, v137, v8, v7
	v_perm_b32 v8, v137, v8, v254
	v_cvt_f16_f32_e64 v137, v235
	.loc	1 62 26                         ; attention_bwd.py:62:26 @[ attention_bwd.py:200:26 ]
	s_waitcnt lgkmcnt(7)
	s_delay_alu instid0(VALU_DEP_2) | instskip(NEXT) | instid1(VALU_DEP_2)
	v_wmma_f32_16x16x16_f16 v[122:129], v[185:192], v[1:8], v[122:129]
	.loc	1 61 21                         ; attention_bwd.py:61:21 @[ attention_bwd.py:200:26 ]
	v_pack_b32_f16 v138, v137, v138
	s_clause 0x1                            ; 32-byte Folded Spill
	scratch_store_b128 off, v[122:125], off offset:988
	scratch_store_b128 off, v[126:129], off offset:1004
	v_permlanex16_b32 v139, v138, s16, 0xfedcba98 op_sel:[1,0]
	scratch_load_b32 v129, off, off         ; 4-byte Folded Reload
	.loc	1 62 26                         ; attention_bwd.py:62:26 @[ attention_bwd.py:200:26 ]
	v_wmma_f32_16x16x16_f16 v[9:16], v[227:234], v[1:8], v[9:16]
	s_clause 0x1                            ; 32-byte Folded Spill
	scratch_store_b128 off, v[9:12], off offset:748
	scratch_store_b128 off, v[13:16], off offset:764
	.loc	1 61 21                         ; attention_bwd.py:61:21 @[ attention_bwd.py:200:26 ]
	v_perm_b32 v137, v139, v138, v57
	scratch_load_b32 v57, off, off          ; 4-byte Folded Reload
	v_perm_b32 v138, v139, v138, v254
	v_cvt_f16_f32_e64 v139, v242
	s_delay_alu instid0(VALU_DEP_1) | instskip(NEXT) | instid1(VALU_DEP_1)
	v_pack_b32_f16 v140, v139, v140
	v_permlanex16_b32 v141, v140, s16, 0xfedcba98 op_sel:[1,0]
	s_waitcnt vmcnt(0)
	s_delay_alu instid0(VALU_DEP_1) | instskip(SKIP_3) | instid1(VALU_DEP_1)
	v_perm_b32 v139, v141, v140, v57
	scratch_load_b32 v57, off, off          ; 4-byte Folded Reload
	v_perm_b32 v140, v141, v140, v254
	v_cvt_f16_f32_e64 v141, v244
	v_pack_b32_f16 v142, v141, v142
	s_delay_alu instid0(VALU_DEP_1) | instskip(SKIP_1) | instid1(VALU_DEP_1)
	v_permlanex16_b32 v143, v142, s16, 0xfedcba98 op_sel:[1,0]
	s_waitcnt vmcnt(0)
	v_perm_b32 v141, v143, v142, v57
	scratch_load_b32 v57, off, off          ; 4-byte Folded Reload
	v_perm_b32 v142, v143, v142, v254
	v_cvt_f16_f32_e64 v143, v246
	s_delay_alu instid0(VALU_DEP_1) | instskip(NEXT) | instid1(VALU_DEP_1)
	v_pack_b32_f16 v144, v143, v144
	v_permlanex16_b32 v153, v144, s16, 0xfedcba98 op_sel:[1,0]
	s_waitcnt vmcnt(0)
	s_delay_alu instid0(VALU_DEP_1)
	v_perm_b32 v143, v153, v144, v57
	v_perm_b32 v144, v153, v144, v254
	s_clause 0x1                            ; 32-byte Folded Reload
	scratch_load_b128 v[57:60], off, off offset:516
	scratch_load_b128 v[61:64], off, off offset:532
	.loc	1 62 26                         ; attention_bwd.py:62:26 @[ attention_bwd.py:200:26 ]
	v_wmma_f32_16x16x16_f16 v[97:104], v[227:234], v[137:144], v[97:104]
	.loc	1 58 21                         ; attention_bwd.py:58:21 @[ attention_bwd.py:200:26 ]
	ds_load_u16_d16_hi v177, v240 offset:6336
	s_waitcnt lgkmcnt(7)
	ds_load_u16_d16_hi v178, v240 offset:6592
	s_waitcnt lgkmcnt(7)
	;; [unrolled: 2-line block ×7, first 2 shown]
	ds_load_u16_d16_hi v184, v240 offset:8128
	ds_load_u16 v226, v240 offset:6496
	ds_load_u16 v227, v240 offset:6752
	;; [unrolled: 1-line block ×7, first 2 shown]
	ds_load_u16_d16_hi v225, v240 offset:6368
	s_waitcnt lgkmcnt(7)
	ds_load_u16_d16_hi v226, v240 offset:6624
	s_waitcnt lgkmcnt(7)
	;; [unrolled: 2-line block ×7, first 2 shown]
	ds_load_u16_d16_hi v232, v240 offset:8160
	s_clause 0x1                            ; 32-byte Folded Spill
	scratch_store_b128 off, v[97:100], off offset:1084
	scratch_store_b128 off, v[101:104], off offset:1100
	s_clause 0x1                            ; 32-byte Folded Reload
	scratch_load_b128 v[97:100], off, off offset:388
	scratch_load_b128 v[101:104], off, off offset:404
	.loc	1 62 26                         ; attention_bwd.py:62:26 @[ attention_bwd.py:200:26 ]
	v_wmma_f32_16x16x16_f16 v[110:117], v[177:184], v[137:144], v[110:117]
	s_clause 0x1                            ; 32-byte Folded Spill
	scratch_store_b128 off, v[110:113], off offset:620
	scratch_store_b128 off, v[114:117], off offset:636
	s_clause 0x1                            ; 32-byte Folded Reload
	scratch_load_b128 v[110:113], off, off offset:228
	scratch_load_b128 v[114:117], off, off offset:244
	v_wmma_f32_16x16x16_f16 v[25:32], v[185:192], v[137:144], v[25:32]
	v_wmma_f32_16x16x16_f16 v[198:205], v[177:184], v[1:8], v[198:205]
	s_clause 0x1                            ; 32-byte Folded Spill
	scratch_store_b128 off, v[198:201], off offset:1020
	scratch_store_b128 off, v[202:205], off offset:1036
	v_dual_mov_b32 v203, v131 :: v_dual_mov_b32 v200, v106
	s_clause 0x1                            ; 32-byte Folded Spill
	scratch_store_b128 off, v[25:28], off offset:4
	scratch_store_b128 off, v[29:32], off offset:20
	s_waitcnt lgkmcnt(0)
	v_wmma_f32_16x16x16_f16 v[89:96], v[225:232], v[1:8], v[89:96]
	v_wmma_f32_16x16x16_f16 v[207:214], v[225:232], v[137:144], v[207:214]
	s_clause 0x1                            ; 32-byte Folded Reload
	scratch_load_b128 v[225:228], off, off offset:356
	scratch_load_b128 v[229:232], off, off offset:372
	s_clause 0x3                            ; 64-byte Folded Spill
	scratch_store_b128 off, v[89:92], off offset:1052
	scratch_store_b128 off, v[93:96], off offset:1068
	;; [unrolled: 1-line block ×4, first 2 shown]
	s_clause 0x3                            ; 64-byte Folded Reload
	scratch_load_b128 v[207:210], off, off offset:292
	scratch_load_b128 v[211:214], off, off offset:308
	;; [unrolled: 1-line block ×4, first 2 shown]
	.loc	1 66 24                         ; attention_bwd.py:66:24 @[ attention_bwd.py:200:26 ]
	ds_load_b128 v[1:4], v19 offset:4096
	ds_load_b128 v[5:8], v19 offset:4112
	;; [unrolled: 1-line block ×4, first 2 shown]
	s_clause 0xd                            ; 224-byte Folded Reload
	scratch_load_b128 v[185:188], off, off offset:716
	scratch_load_b128 v[189:192], off, off offset:732
	scratch_load_b128 v[9:12], off, off offset:684
	scratch_load_b128 v[13:16], off, off offset:700
	scratch_load_b128 v[25:28], off, off offset:652
	scratch_load_b128 v[29:32], off, off offset:668
	scratch_load_b128 v[49:52], off, off offset:936
	scratch_load_b128 v[53:56], off, off offset:952
	scratch_load_b128 v[41:44], off, off offset:904
	scratch_load_b128 v[45:48], off, off offset:920
	scratch_load_b128 v[73:76], off, off offset:872
	scratch_load_b128 v[77:80], off, off offset:888
	scratch_load_b128 v[65:68], off, off offset:840
	scratch_load_b128 v[69:72], off, off offset:856
	v_mov_b32_e32 v202, v118
	v_bfe_u32 v233, v130, 4, 1
	scratch_load_b32 v131, off, off offset:1376 ; 4-byte Folded Reload
	v_mov_b32_e32 v198, v107
	s_waitcnt vmcnt(23) lgkmcnt(2)
	v_wmma_f32_16x16x16_f16 v[161:168], v[1:8], v[97:104], v[145:152]
	s_waitcnt vmcnt(19)
	v_wmma_f32_16x16x16_f16 v[153:160], v[1:8], v[225:232], v[145:152]
	ds_load_b128 v[1:4], v19 offset:4160
	ds_load_b128 v[5:8], v19 offset:4176
	s_waitcnt vmcnt(17) lgkmcnt(2)
	v_wmma_f32_16x16x16_f16 v[153:160], v[137:144], v[207:214], v[153:160]
	s_waitcnt vmcnt(15)
	v_wmma_f32_16x16x16_f16 v[161:168], v[137:144], v[89:96], v[161:168]
	s_waitcnt lgkmcnt(0)
	s_delay_alu instid0(VALU_DEP_2) | instskip(NEXT) | instid1(VALU_DEP_2)
	v_wmma_f32_16x16x16_f16 v[153:160], v[1:8], v[110:117], v[153:160]
	v_wmma_f32_16x16x16_f16 v[161:168], v[1:8], v[81:88], v[161:168]
	ds_load_b128 v[1:4], v19 offset:4192
	ds_load_b128 v[5:8], v19 offset:4208
	s_waitcnt lgkmcnt(0)
	v_wmma_f32_16x16x16_f16 v[153:160], v[1:8], v[57:64], v[153:160]
	v_wmma_f32_16x16x16_f16 v[161:168], v[1:8], v[33:40], v[161:168]
	scratch_load_b32 v4, off, off offset:836 ; 4-byte Folded Reload
	.loc	1 67 26                         ; attention_bwd.py:67:26 @[ attention_bwd.py:200:26 ]
	v_dual_sub_f32 v137, v153, v252 :: v_dual_sub_f32 v138, v154, v119
	v_sub_f32_e32 v139, v155, v239
	v_dual_sub_f32 v141, v157, v216 :: v_dual_sub_f32 v142, v158, v251
	s_delay_alu instid0(VALU_DEP_3) | instskip(SKIP_1) | instid1(VALU_DEP_3)
	.loc	1 68 21                         ; attention_bwd.py:68:21 @[ attention_bwd.py:200:26 ]
	v_fma_mixlo_f16 v2, v237, v137, 0
	.loc	1 67 26                         ; attention_bwd.py:67:26 @[ attention_bwd.py:200:26 ]
	v_dual_sub_f32 v143, v159, v120 :: v_dual_sub_f32 v144, v160, v215
	.loc	1 68 21                         ; attention_bwd.py:68:21 @[ attention_bwd.py:200:26 ]
	v_fma_mixlo_f16 v6, v249, v141, 0
	.loc	1 67 26                         ; attention_bwd.py:67:26 @[ attention_bwd.py:200:26 ]
	v_dual_sub_f32 v177, v161, v252 :: v_dual_sub_f32 v178, v162, v119
	s_delay_alu instid0(VALU_DEP_4) | instskip(NEXT) | instid1(VALU_DEP_4)
	.loc	1 68 21                         ; attention_bwd.py:68:21 @[ attention_bwd.py:200:26 ]
	v_fma_mixhi_f16 v2, v238, v138, 0
	v_fma_mixlo_f16 v8, v136, v143, 0
	s_delay_alu instid0(VALU_DEP_4) | instskip(SKIP_1) | instid1(VALU_DEP_4)
	v_fma_mixhi_f16 v6, v250, v142, 0
	.loc	1 67 26                         ; attention_bwd.py:67:26 @[ attention_bwd.py:200:26 ]
	v_dual_sub_f32 v181, v165, v216 :: v_dual_sub_f32 v182, v166, v251
	.loc	1 68 21                         ; attention_bwd.py:68:21 @[ attention_bwd.py:200:26 ]
	v_permlanex16_b32 v3, v2, s16, 0xfedcba98 op_sel:[1,0]
	s_delay_alu instid0(VALU_DEP_4) | instskip(SKIP_1) | instid1(VALU_DEP_3)
	v_fma_mixhi_f16 v8, v133, v144, 0
	.loc	1 67 26                         ; attention_bwd.py:67:26 @[ attention_bwd.py:200:26 ]
	v_dual_sub_f32 v183, v167, v120 :: v_dual_sub_f32 v184, v168, v215
	.loc	1 68 21                         ; attention_bwd.py:68:21 @[ attention_bwd.py:200:26 ]
	v_perm_b32 v1, v3, v2, v129
	v_perm_b32 v2, v3, v2, v254
	.loc	1 67 26                         ; attention_bwd.py:67:26 @[ attention_bwd.py:200:26 ]
	s_waitcnt vmcnt(0)
	v_sub_f32_e32 v140, v156, v4
	v_sub_f32_e32 v180, v164, v4
	.loc	1 68 21                         ; attention_bwd.py:68:21 @[ attention_bwd.py:200:26 ]
	v_fma_mixlo_f16 v0, v0, v139, 0
	s_delay_alu instid0(VALU_DEP_1) | instskip(NEXT) | instid1(VALU_DEP_1)
	v_fma_mixhi_f16 v0, v135, v140, 0
	v_permlanex16_b32 v4, v0, s16, 0xfedcba98 op_sel:[1,0]
	s_delay_alu instid0(VALU_DEP_1) | instskip(SKIP_2) | instid1(VALU_DEP_1)
	v_perm_b32 v3, v4, v0, v129
	v_perm_b32 v4, v4, v0, v254
	v_permlanex16_b32 v0, v6, s16, 0xfedcba98 op_sel:[1,0]
	v_perm_b32 v5, v0, v6, v129
	v_perm_b32 v6, v0, v6, v254
	v_permlanex16_b32 v0, v8, s16, 0xfedcba98 op_sel:[1,0]
	s_delay_alu instid0(VALU_DEP_1)
	v_perm_b32 v7, v0, v8, v129
	v_perm_b32 v8, v0, v8, v254
	.loc	1 69 26                         ; attention_bwd.py:69:26 @[ attention_bwd.py:200:26 ]
	s_clause 0x1                            ; 8-byte Folded Reload
	scratch_load_b32 v0, off, off offset:1620
	scratch_load_b32 v17, off, off offset:1612
	.loc	1 67 26                         ; attention_bwd.py:67:26 @[ attention_bwd.py:200:26 ]
	s_waitcnt vmcnt(0)
	v_dual_sub_f32 v179, v163, v239 :: v_dual_add_nc_u32 v0, v17, v0
	.loc	1 69 26                         ; attention_bwd.py:69:26 @[ attention_bwd.py:200:26 ]
	ds_load_b128 v[137:140], v0
	ds_load_b128 v[141:144], v0 offset:16
	ds_load_b128 v[153:156], v0 offset:1024
	;; [unrolled: 1-line block ×7, first 2 shown]
	s_waitcnt lgkmcnt(6)
	v_wmma_f32_16x16x16_f16 v[65:72], v[137:144], v[1:8], v[65:72]
	s_waitcnt lgkmcnt(4)
	v_wmma_f32_16x16x16_f16 v[73:80], v[153:160], v[1:8], v[73:80]
	;; [unrolled: 2-line block ×4, first 2 shown]
	.loc	1 68 21                         ; attention_bwd.py:68:21 @[ attention_bwd.py:200:26 ]
	v_fma_mixlo_f16 v2, v253, v177, 0
	v_fma_mixlo_f16 v4, v236, v179, 0
	;; [unrolled: 1-line block ×4, first 2 shown]
	v_mov_b32_e32 v196, v109
	v_fma_mixhi_f16 v2, v132, v178, 0
	v_fma_mixhi_f16 v4, v193, v180, 0
	;; [unrolled: 1-line block ×4, first 2 shown]
	s_clause 0x4                            ; 44-byte Folded Reload
	scratch_load_b128 v[177:180], off, off offset:804
	scratch_load_b128 v[181:184], off, off offset:820
	scratch_load_b32 v18, off, off offset:1460
	scratch_load_b32 v118, off, off offset:1428
	;; [unrolled: 1-line block ×3, first 2 shown]
	v_permlanex16_b32 v3, v2, s16, 0xfedcba98 op_sel:[1,0]
	v_permlanex16_b32 v5, v4, s16, 0xfedcba98 op_sel:[1,0]
	;; [unrolled: 1-line block ×4, first 2 shown]
	v_mov_b32_e32 v195, v105
	v_perm_b32 v1, v3, v2, v129
	v_perm_b32 v2, v3, v2, v254
	;; [unrolled: 1-line block ×8, first 2 shown]
	v_mov_b32_e32 v197, v108
	s_delay_alu instid0(VALU_DEP_2)
	.loc	1 69 26                         ; attention_bwd.py:69:26 @[ attention_bwd.py:200:26 ]
	v_wmma_f32_16x16x16_f16 v[25:32], v[153:160], v[1:8], v[25:32]
	v_wmma_f32_16x16x16_f16 v[9:16], v[161:168], v[1:8], v[9:16]
	;; [unrolled: 1-line block ×3, first 2 shown]
	s_waitcnt vmcnt(3)
	v_wmma_f32_16x16x16_f16 v[177:184], v[137:144], v[1:8], v[177:184]
	.loc	1 66 24                         ; attention_bwd.py:66:24 @[ attention_bwd.py:200:26 ]
	ds_load_b128 v[1:4], v19 offset:6144
	ds_load_b128 v[5:8], v19 offset:6160
	s_waitcnt lgkmcnt(0)
	v_wmma_f32_16x16x16_f16 v[137:144], v[1:8], v[225:232], v[145:152]
	v_wmma_f32_16x16x16_f16 v[153:160], v[1:8], v[97:104], v[145:152]
	ds_load_b128 v[1:4], v19 offset:6176
	ds_load_b128 v[5:8], v19 offset:6192
	s_waitcnt lgkmcnt(0)
	v_wmma_f32_16x16x16_f16 v[137:144], v[1:8], v[207:214], v[137:144]
	v_wmma_f32_16x16x16_f16 v[153:160], v[1:8], v[89:96], v[153:160]
	;; [unrolled: 5-line block ×3, first 2 shown]
	ds_load_b128 v[1:4], v19 offset:6240
	ds_load_b128 v[5:8], v19 offset:6256
	s_clause 0x1                            ; 8-byte Folded Reload
	scratch_load_b32 v113, off, off offset:1380
	scratch_load_b32 v114, off, off offset:1384
	s_waitcnt lgkmcnt(0)
	v_wmma_f32_16x16x16_f16 v[137:144], v[1:8], v[57:64], v[137:144]
	v_wmma_f32_16x16x16_f16 v[153:160], v[1:8], v[33:40], v[153:160]
	s_clause 0x9                            ; 40-byte Folded Reload
	scratch_load_b32 v1, off, off offset:972
	scratch_load_b32 v2, off, off offset:968
	;; [unrolled: 1-line block ×10, first 2 shown]
	.loc	1 67 26                         ; attention_bwd.py:67:26 @[ attention_bwd.py:200:26 ]
	s_waitcnt vmcnt(8)
	v_dual_sub_f32 v132, v137, v1 :: v_dual_sub_f32 v133, v138, v2
	s_waitcnt vmcnt(6)
	v_dual_sub_f32 v135, v139, v3 :: v_dual_sub_f32 v136, v140, v4
	;; [unrolled: 2-line block ×4, first 2 shown]
	v_dual_sub_f32 v169, v153, v1 :: v_dual_sub_f32 v174, v158, v6
	v_dual_sub_f32 v175, v159, v7 :: v_dual_sub_f32 v176, v160, v8
	.loc	1 68 21                         ; attention_bwd.py:68:21 @[ attention_bwd.py:200:26 ]
	v_fma_mixlo_f16 v6, v221, v137, 0
	s_delay_alu instid0(VALU_DEP_4)
	v_fma_mixlo_f16 v8, v223, v139, 0
	.loc	1 67 26                         ; attention_bwd.py:67:26 @[ attention_bwd.py:200:26 ]
	v_dual_sub_f32 v170, v154, v2 :: v_dual_sub_f32 v171, v155, v3
	v_dual_sub_f32 v172, v156, v4 :: v_dual_sub_f32 v173, v157, v5
	.loc	1 68 21                         ; attention_bwd.py:68:21 @[ attention_bwd.py:200:26 ]
	v_fma_mixlo_f16 v2, v217, v132, 0
	v_fma_mixlo_f16 v4, v219, v135, 0
	v_fma_mixhi_f16 v6, v222, v138, 0
	v_fma_mixhi_f16 v8, v224, v140, 0
	.loc	1 69 26                         ; attention_bwd.py:69:26 @[ attention_bwd.py:200:26 ]
	ds_load_b128 v[137:140], v0 offset:32
	ds_load_b128 v[141:144], v0 offset:48
	;; [unrolled: 1-line block ×8, first 2 shown]
	.loc	1 68 21                         ; attention_bwd.py:68:21 @[ attention_bwd.py:200:26 ]
	v_fma_mixhi_f16 v2, v218, v133, 0
	v_fma_mixhi_f16 v4, v220, v136, 0
	v_permlanex16_b32 v7, v6, s16, 0xfedcba98 op_sel:[1,0]
	v_permlanex16_b32 v132, v8, s16, 0xfedcba98 op_sel:[1,0]
	v_fma_mixlo_f16 v0, v235, v169, 0
	v_permlanex16_b32 v3, v2, s16, 0xfedcba98 op_sel:[1,0]
	v_permlanex16_b32 v5, v4, s16, 0xfedcba98 op_sel:[1,0]
	s_delay_alu instid0(VALU_DEP_3) | instskip(NEXT) | instid1(VALU_DEP_3)
	v_fma_mixhi_f16 v0, v241, v170, 0
	v_perm_b32 v1, v3, v2, v129
	v_perm_b32 v2, v3, v2, v254
	s_delay_alu instid0(VALU_DEP_4)
	v_perm_b32 v3, v5, v4, v129
	v_perm_b32 v4, v5, v4, v254
	;; [unrolled: 1-line block ×6, first 2 shown]
	.loc	1 69 26                         ; attention_bwd.py:69:26 @[ attention_bwd.py:200:26 ]
	s_waitcnt lgkmcnt(6)
	s_delay_alu instid0(VALU_DEP_1)
	v_wmma_f32_16x16x16_f16 v[65:72], v[137:144], v[1:8], v[65:72]
	s_waitcnt lgkmcnt(4)
	v_wmma_f32_16x16x16_f16 v[73:80], v[145:152], v[1:8], v[73:80]
	s_waitcnt lgkmcnt(2)
	;; [unrolled: 2-line block ×3, first 2 shown]
	v_wmma_f32_16x16x16_f16 v[49:56], v[161:168], v[1:8], v[49:56]
	.loc	1 68 21                         ; attention_bwd.py:68:21 @[ attention_bwd.py:200:26 ]
	v_fma_mixlo_f16 v4, v242, v171, 0
	v_fma_mixlo_f16 v6, v244, v173, 0
	s_clause 0x1                            ; 8-byte Folded Reload
	scratch_load_b32 v171, off, off offset:1372
	scratch_load_b32 v173, off, off offset:1348
	v_permlanex16_b32 v2, v0, s16, 0xfedcba98 op_sel:[1,0]
	v_fma_mixhi_f16 v4, v243, v172, 0
	scratch_load_b32 v172, off, off offset:1352 ; 4-byte Folded Reload
	v_fma_mixhi_f16 v6, v245, v174, 0
	scratch_load_b32 v174, off, off offset:1344 ; 4-byte Folded Reload
	v_fma_mixlo_f16 v8, v246, v175, 0
	v_perm_b32 v1, v2, v0, v129
	v_perm_b32 v2, v2, v0, v254
	v_permlanex16_b32 v0, v4, s16, 0xfedcba98 op_sel:[1,0]
	s_delay_alu instid0(VALU_DEP_4) | instskip(NEXT) | instid1(VALU_DEP_2)
	v_fma_mixhi_f16 v8, v247, v176, 0
	v_perm_b32 v3, v0, v4, v129
	v_perm_b32 v4, v0, v4, v254
	v_permlanex16_b32 v0, v6, s16, 0xfedcba98 op_sel:[1,0]
	s_delay_alu instid0(VALU_DEP_1) | instskip(SKIP_2) | instid1(VALU_DEP_1)
	v_perm_b32 v5, v0, v6, v129
	v_perm_b32 v6, v0, v6, v254
	v_permlanex16_b32 v0, v8, s16, 0xfedcba98 op_sel:[1,0]
	v_perm_b32 v7, v0, v8, v129
	v_perm_b32 v8, v0, v8, v254
	s_delay_alu instid0(VALU_DEP_1)
	.loc	1 69 26                         ; attention_bwd.py:69:26 @[ attention_bwd.py:200:26 ]
	v_wmma_f32_16x16x16_f16 v[185:192], v[161:168], v[1:8], v[185:192]
	s_clause 0x6                            ; 28-byte Folded Reload
	scratch_load_b32 v168, off, off offset:1276
	scratch_load_b32 v167, off, off offset:1248
	scratch_load_b32 v166, off, off offset:1244
	scratch_load_b32 v165, off, off offset:1280
	scratch_load_b32 v164, off, off offset:1340
	scratch_load_b32 v163, off, off offset:1272
	scratch_load_b32 v162, off, off offset:1172
	v_wmma_f32_16x16x16_f16 v[9:16], v[153:160], v[1:8], v[9:16]
	s_clause 0x6                            ; 28-byte Folded Reload
	scratch_load_b32 v160, off, off offset:1256
	scratch_load_b32 v159, off, off offset:1240
	scratch_load_b32 v157, off, off offset:1208
	scratch_load_b32 v156, off, off offset:1268
	scratch_load_b32 v155, off, off offset:1120
	scratch_load_b32 v154, off, off offset:1176
	scratch_load_b32 v153, off, off offset:1116
	v_wmma_f32_16x16x16_f16 v[25:32], v[145:152], v[1:8], v[25:32]
	s_clause 0x7                            ; 32-byte Folded Reload
	scratch_load_b32 v152, off, off offset:1264
	scratch_load_b32 v151, off, off offset:1260
	scratch_load_b32 v150, off, off offset:1252
	scratch_load_b32 v21, off, off offset:1168
	scratch_load_b32 v22, off, off offset:1164
	scratch_load_b32 v23, off, off offset:1128
	scratch_load_b32 v24, off, off offset:1124
	scratch_load_b32 v149, off, off offset:1132
	v_wmma_f32_16x16x16_f16 v[177:184], v[137:144], v[1:8], v[177:184]
	v_add_co_u32 v1, s36, s63, v233
	.loc	1 51 24                         ; attention_bwd.py:51:24 @[ attention_bwd.py:200:26 ]
	v_add_nc_u32_e32 v5, s63, v233
	v_add_co_ci_u32_e64 v2, null, s17, 0, s36
	.loc	1 47 25                         ; attention_bwd.py:47:25 @[ attention_bwd.py:200:26 ]
	s_add_i32 s63, s63, 32
	s_cmp_lg_u32 s3, 0
	.loc	1 51 24                         ; attention_bwd.py:51:24 @[ attention_bwd.py:200:26 ]
	v_ashrrev_i32_e32 v6, 31, v5
	v_lshlrev_b64 v[1:2], 2, v[1:2]
	s_delay_alu instid0(VALU_DEP_2) | instskip(NEXT) | instid1(VALU_DEP_2)
	v_lshlrev_b64 v[5:6], 2, v[5:6]
	v_add_co_u32 v3, vcc_lo, s45, v1
	s_delay_alu instid0(VALU_DEP_1) | instskip(SKIP_1) | instid1(VALU_DEP_1)
	v_add_co_ci_u32_e64 v4, null, s46, v2, vcc_lo
	.loc	1 64 25                         ; attention_bwd.py:64:25 @[ attention_bwd.py:200:26 ]
	v_add_co_u32 v1, vcc_lo, s43, v1
	v_add_co_ci_u32_e64 v2, null, s44, v2, vcc_lo
	.loc	1 51 24                         ; attention_bwd.py:51:24 @[ attention_bwd.py:200:26 ]
	v_add_co_u32 v7, vcc_lo, s45, v5
	s_delay_alu instid0(VALU_DEP_1) | instskip(SKIP_1) | instid1(VALU_DEP_1)
	v_add_co_ci_u32_e64 v8, null, s46, v6, vcc_lo
	.loc	1 64 25                         ; attention_bwd.py:64:25 @[ attention_bwd.py:200:26 ]
	v_add_co_u32 v5, vcc_lo, s43, v5
	v_add_co_ci_u32_e64 v6, null, s44, v6, vcc_lo
	.loc	1 73 19                         ; attention_bwd.py:73:19 @[ attention_bwd.py:200:26 ]
	s_waitcnt vmcnt(24)
	v_add_co_u32 v137, vcc_lo, v173, s12
	s_waitcnt vmcnt(22)
	v_add_co_ci_u32_e64 v138, null, s13, v174, vcc_lo
	.loc	1 58 21                         ; attention_bwd.py:58:21 @[ attention_bwd.py:200:26 ]
	global_load_u16 v0, v[137:138], off
	.loc	1 73 19                         ; attention_bwd.py:73:19 @[ attention_bwd.py:200:26 ]
	v_add_co_u32 v137, vcc_lo, v171, s12
	s_delay_alu instid0(VALU_DEP_1) | instskip(SKIP_2) | instid1(VALU_DEP_1)
	v_add_co_ci_u32_e64 v138, null, s13, v172, vcc_lo
	.loc	1 58 21                         ; attention_bwd.py:58:21 @[ attention_bwd.py:200:26 ]
	global_load_u16 v132, v[137:138], off
	.loc	1 73 19                         ; attention_bwd.py:73:19 @[ attention_bwd.py:200:26 ]
	v_add_co_u32 v137, vcc_lo, v33, s12
	v_add_co_ci_u32_e64 v138, null, s13, v113, vcc_lo
	.loc	1 58 21                         ; attention_bwd.py:58:21 @[ attention_bwd.py:200:26 ]
	global_load_u16 v133, v[137:138], off
	.loc	1 73 19                         ; attention_bwd.py:73:19 @[ attention_bwd.py:200:26 ]
	v_add_co_u32 v137, vcc_lo, v36, s12
	s_waitcnt vmcnt(24)
	v_add_co_ci_u32_e64 v138, null, s13, v168, vcc_lo
	.loc	1 58 21                         ; attention_bwd.py:58:21 @[ attention_bwd.py:200:26 ]
	global_load_u16 v135, v[137:138], off
	.loc	1 73 19                         ; attention_bwd.py:73:19 @[ attention_bwd.py:200:26 ]
	s_waitcnt vmcnt(23)
	v_add_co_u32 v137, vcc_lo, v166, s12
	s_delay_alu instid0(VALU_DEP_1) | instskip(SKIP_3) | instid1(VALU_DEP_1)
	v_add_co_ci_u32_e64 v138, null, s13, v167, vcc_lo
	.loc	1 58 21                         ; attention_bwd.py:58:21 @[ attention_bwd.py:200:26 ]
	global_load_u16 v136, v[137:138], off
	.loc	1 73 19                         ; attention_bwd.py:73:19 @[ attention_bwd.py:200:26 ]
	s_waitcnt vmcnt(22)
	v_add_co_u32 v137, vcc_lo, v164, s12
	v_add_co_ci_u32_e64 v138, null, s13, v165, vcc_lo
	.loc	1 58 21                         ; attention_bwd.py:58:21 @[ attention_bwd.py:200:26 ]
	global_load_u16 v139, v[137:138], off
	.loc	1 73 19                         ; attention_bwd.py:73:19 @[ attention_bwd.py:200:26 ]
	s_waitcnt vmcnt(21)
	v_add_co_u32 v137, vcc_lo, v162, s12
	s_delay_alu instid0(VALU_DEP_1) | instskip(SKIP_3) | instid1(VALU_DEP_1)
	v_add_co_ci_u32_e64 v138, null, s13, v163, vcc_lo
	.loc	1 58 21                         ; attention_bwd.py:58:21 @[ attention_bwd.py:200:26 ]
	global_load_u16 v140, v[137:138], off
	.loc	1 73 19                         ; attention_bwd.py:73:19 @[ attention_bwd.py:200:26 ]
	s_waitcnt vmcnt(20)
	v_add_co_u32 v137, vcc_lo, v159, s12
	;; [unrolled: 13-line block ×4, first 2 shown]
	v_add_co_ci_u32_e64 v138, null, s13, v151, vcc_lo
	.loc	1 58 21                         ; attention_bwd.py:58:21 @[ attention_bwd.py:200:26 ]
	global_load_u16 v145, v[137:138], off
	.loc	1 73 19                         ; attention_bwd.py:73:19 @[ attention_bwd.py:200:26 ]
	v_add_co_u32 v137, vcc_lo, v22, s12
	s_delay_alu instid0(VALU_DEP_1) | instskip(SKIP_2) | instid1(VALU_DEP_1)
	v_add_co_ci_u32_e64 v138, null, s13, v23, vcc_lo
	.loc	1 58 21                         ; attention_bwd.py:58:21 @[ attention_bwd.py:200:26 ]
	global_load_u16 v146, v[137:138], off
	.loc	1 73 19                         ; attention_bwd.py:73:19 @[ attention_bwd.py:200:26 ]
	v_add_co_u32 v137, vcc_lo, v150, s12
	v_add_co_ci_u32_e64 v138, null, s13, v21, vcc_lo
	.loc	1 58 21                         ; attention_bwd.py:58:21 @[ attention_bwd.py:200:26 ]
	global_load_u16 v147, v[137:138], off
	.loc	1 73 19                         ; attention_bwd.py:73:19 @[ attention_bwd.py:200:26 ]
	v_add_co_u32 v137, vcc_lo, v18, s12
	s_waitcnt vmcnt(14)
	v_add_co_ci_u32_e64 v138, null, s13, v149, vcc_lo
	.loc	1 58 21                         ; attention_bwd.py:58:21 @[ attention_bwd.py:200:26 ]
	global_load_u16 v148, v[137:138], off
	.loc	1 48 21                         ; attention_bwd.py:48:21 @[ attention_bwd.py:200:26 ]
	v_add_co_u32 v137, vcc_lo, v17, s12
	s_delay_alu instid0(VALU_DEP_1)
	v_add_co_ci_u32_e64 v138, null, s13, v118, vcc_lo
	.loc	1 58 21                         ; attention_bwd.py:58:21 @[ attention_bwd.py:200:26 ]
	global_load_u16 v137, v[137:138], off
	.loc	1 51 20                         ; attention_bwd.py:51:20 @[ attention_bwd.py:200:26 ]
	s_clause 0xe
	global_load_b32 v38, v[3:4], off offset:64
	global_load_b32 v130, v[3:4], off offset:72
	;; [unrolled: 1-line block ×15, first 2 shown]
	s_clause 0x1                            ; 8-byte Folded Reload
	scratch_load_b32 v4, off, off offset:1368
	scratch_load_b32 v3, off, off offset:1364
	global_load_b32 v235, v[7:8], off
	s_clause 0x1                            ; 8-byte Folded Reload
	scratch_load_b32 v8, off, off offset:1292
	scratch_load_b32 v7, off, off offset:1288
	.loc	1 64 21                         ; attention_bwd.py:64:21 @[ attention_bwd.py:200:26 ]
	s_clause 0xe
	global_load_b32 v115, v[1:2], off offset:64
	global_load_b32 v19, v[1:2], off offset:72
	;; [unrolled: 1-line block ×15, first 2 shown]
	s_clause 0x1                            ; 8-byte Folded Reload
	scratch_load_b32 v2, off, off offset:580
	scratch_load_b32 v1, off, off offset:548
	global_load_b32 v252, v[5:6], off
	s_clause 0x1                            ; 8-byte Folded Reload
	scratch_load_b32 v6, off, off offset:1360
	scratch_load_b32 v5, off, off offset:1356
	.loc	1 47 25                         ; attention_bwd.py:47:25 @[ attention_bwd.py:200:26 ]
	v_add_co_u32 v17, vcc_lo, v17, s4
	s_delay_alu instid0(VALU_DEP_1) | instskip(SKIP_1) | instid1(VALU_DEP_1)
	v_add_co_ci_u32_e64 v118, null, s5, v118, vcc_lo
	v_add_co_u32 v18, vcc_lo, v18, s4
	v_add_co_ci_u32_e64 v149, null, s5, v149, vcc_lo
	v_add_co_u32 v150, vcc_lo, v150, s4
	s_delay_alu instid0(VALU_DEP_1) | instskip(SKIP_1) | instid1(VALU_DEP_1)
	v_add_co_ci_u32_e64 v21, null, s5, v21, vcc_lo
	v_add_co_u32 v22, vcc_lo, v22, s4
	v_add_co_ci_u32_e64 v23, null, s5, v23, vcc_lo
	;; [unrolled: 5-line block ×8, first 2 shown]
	.loc	1 48 21                         ; attention_bwd.py:48:21 @[ attention_bwd.py:200:26 ]
	s_waitcnt vmcnt(0)
	s_waitcnt_vscnt null, 0x0
	s_barrier
	buffer_gl0_inv
	scratch_load_b32 v61, off, off offset:1464 ; 4-byte Folded Reload
	.loc	1 58 21                         ; attention_bwd.py:58:21 @[ attention_bwd.py:200:26 ]
	ds_store_b16 v255, v145 offset:6912
	ds_store_b16 v255, v146 offset:7168
	;; [unrolled: 1-line block ×4, first 2 shown]
	s_clause 0x3                            ; 16-byte Folded Reload
	scratch_load_b32 v145, off, off offset:1324
	scratch_load_b32 v146, off, off offset:1328
	;; [unrolled: 1-line block ×4, first 2 shown]
	ds_store_b16 v255, v132 offset:4352
	ds_store_b16 v255, v133 offset:4608
	;; [unrolled: 1-line block ×5, first 2 shown]
	scratch_load_b32 v139, off, off offset:1300 ; 4-byte Folded Reload
	ds_store_b16 v255, v140 offset:5632
	scratch_load_b32 v140, off, off offset:1304 ; 4-byte Folded Reload
	ds_store_b16 v255, v141 offset:5888
	;; [unrolled: 2-line block ×6, first 2 shown]
	scratch_load_b32 v137, off, off offset:1296 ; 4-byte Folded Reload
	.loc	1 48 21                         ; attention_bwd.py:48:21 @[ attention_bwd.py:200:26 ]
	s_waitcnt vmcnt(11)
	ds_store_b16 v255, v61
	scratch_load_b32 v61, off, off offset:1496 ; 4-byte Folded Reload
	s_waitcnt vmcnt(0)
	ds_store_b16 v255, v61 offset:256
	scratch_load_b32 v61, off, off offset:1500 ; 4-byte Folded Reload
	s_waitcnt vmcnt(0)
	ds_store_b16 v255, v61 offset:512
	scratch_load_b32 v61, off, off offset:1508 ; 4-byte Folded Reload
	s_waitcnt vmcnt(0)
	ds_store_b16 v255, v61 offset:768
	scratch_load_b32 v61, off, off offset:1516 ; 4-byte Folded Reload
	s_waitcnt vmcnt(0)
	ds_store_b16 v255, v61 offset:1024
	scratch_load_b32 v61, off, off offset:1524 ; 4-byte Folded Reload
	s_waitcnt vmcnt(0)
	ds_store_b16 v255, v61 offset:1280
	scratch_load_b32 v61, off, off offset:1532 ; 4-byte Folded Reload
	s_waitcnt vmcnt(0)
	ds_store_b16 v255, v61 offset:1536
	scratch_load_b32 v61, off, off offset:1540 ; 4-byte Folded Reload
	s_waitcnt vmcnt(0)
	ds_store_b16 v255, v61 offset:1792
	scratch_load_b32 v61, off, off offset:1548 ; 4-byte Folded Reload
	s_waitcnt vmcnt(0)
	ds_store_b16 v255, v61 offset:2048
	scratch_load_b32 v61, off, off offset:1556 ; 4-byte Folded Reload
	s_waitcnt vmcnt(0)
	ds_store_b16 v255, v61 offset:2304
	scratch_load_b32 v61, off, off offset:1564 ; 4-byte Folded Reload
	s_waitcnt vmcnt(0)
	ds_store_b16 v255, v61 offset:2560
	scratch_load_b32 v61, off, off offset:1572 ; 4-byte Folded Reload
	s_waitcnt vmcnt(0)
	ds_store_b16 v255, v61 offset:2816
	scratch_load_b32 v61, off, off offset:1580 ; 4-byte Folded Reload
	s_waitcnt vmcnt(0)
	ds_store_b16 v255, v61 offset:3072
	scratch_load_b32 v61, off, off offset:1588 ; 4-byte Folded Reload
	s_waitcnt vmcnt(0)
	ds_store_b16 v255, v61 offset:3328
	scratch_load_b32 v61, off, off offset:1596 ; 4-byte Folded Reload
	s_waitcnt vmcnt(0)
	ds_store_b16 v255, v61 offset:3584
	scratch_load_b32 v61, off, off offset:1604 ; 4-byte Folded Reload
	s_waitcnt vmcnt(0)
	ds_store_b16 v255, v61 offset:3840
	.loc	1 58 21                         ; attention_bwd.py:58:21 @[ attention_bwd.py:200:26 ]
	ds_store_b16 v255, v0 offset:4096
	scratch_load_b32 v0, off, off offset:1284 ; 4-byte Folded Reload
	.loc	1 47 25                         ; attention_bwd.py:47:25 @[ attention_bwd.py:200:26 ]
	s_waitcnt vmcnt(0)
	v_add_co_u32 v0, vcc_lo, v0, s4
	s_delay_alu instid0(VALU_DEP_1) | instskip(SKIP_1) | instid1(VALU_DEP_1)
	v_add_co_ci_u32_e64 v7, null, s5, v7, vcc_lo
	v_add_co_u32 v8, vcc_lo, v8, s4
	v_add_co_ci_u32_e64 v137, null, s5, v137, vcc_lo
	v_add_co_u32 v139, vcc_lo, v139, s4
	s_delay_alu instid0(VALU_DEP_1) | instskip(SKIP_1) | instid1(VALU_DEP_1)
	v_add_co_ci_u32_e64 v140, null, s5, v140, vcc_lo
	v_add_co_u32 v141, vcc_lo, v141, s4
	v_add_co_ci_u32_e64 v142, null, s5, v142, vcc_lo
	;; [unrolled: 5-line block ×8, first 2 shown]
	s_cbranch_scc1 .LBB0_105
; %bb.106:                              ; %Flow2652
	.loc	1 0 25 is_stmt 0                ; attention_bwd.py:0:25
	s_clause 0x16                           ; 92-byte Folded Spill
	scratch_store_b32 off, v60, off offset:1208
	scratch_store_b32 off, v59, off offset:1120
	;; [unrolled: 1-line block ×23, first 2 shown]
	s_clause 0xf                            ; 236-byte Folded Reload
	scratch_load_b128 v[105:108], off, off offset:4
	scratch_load_b128 v[109:112], off, off offset:20
	;; [unrolled: 1-line block ×14, first 2 shown]
	scratch_load_b64 v[127:128], off, off offset:1864
	scratch_load_b32 v131, off, off offset:1628
	s_branch .LBB0_135
.LBB0_107:
	scratch_load_b64 v[2:3], off, off offset:1708 ; 8-byte Folded Reload
	.loc	1 41 49 is_stmt 1               ; attention_bwd.py:41:49 @[ attention_bwd.py:200:26 ]
	s_waitcnt vmcnt(0)
	v_add_co_u32 v2, vcc_lo, v139, v2
	s_delay_alu instid0(VALU_DEP_1)
	v_add_co_ci_u32_e64 v3, null, v140, v3, vcc_lo
	.loc	1 48 21                         ; attention_bwd.py:48:21 @[ attention_bwd.py:200:26 ]
	global_load_u16 v251, v[2:3], off
	v_dual_mov_b32 v33, 0 :: v_dual_mov_b32 v34, 0
	.loc	1 58 21                         ; attention_bwd.py:58:21 @[ attention_bwd.py:200:26 ]
	s_and_b32 vcc_lo, exec_lo, s0
	s_cbranch_vccnz .LBB0_34
.LBB0_108:
	.loc	1 38 23                         ; attention_bwd.py:38:23 @[ attention_bwd.py:200:26 ]
	scratch_load_b32 v0, off, off offset:976 ; 4-byte Folded Reload
	s_waitcnt vmcnt(0)
	v_or_b32_e32 v0, s2, v0
	s_delay_alu instid0(VALU_DEP_1) | instskip(NEXT) | instid1(VALU_DEP_1)
	.loc	1 42 37                         ; attention_bwd.py:42:37 @[ attention_bwd.py:200:26 ]
	v_mul_lo_u32 v2, s10, v0
	.loc	1 42 19 is_stmt 0               ; attention_bwd.py:42:19 @[ attention_bwd.py:200:26 ]
	v_ashrrev_i32_e32 v3, 31, v2
	s_delay_alu instid0(VALU_DEP_1) | instskip(NEXT) | instid1(VALU_DEP_1)
	v_lshlrev_b64 v[2:3], 1, v[2:3]
	v_add_co_u32 v0, vcc_lo, s47, v2
	s_delay_alu instid0(VALU_DEP_1) | instskip(NEXT) | instid1(VALU_DEP_2)
	v_add_co_ci_u32_e64 v3, null, s48, v3, vcc_lo
	.loc	1 42 50                         ; attention_bwd.py:42:50 @[ attention_bwd.py:200:26 ]
	v_add_co_u32 v2, vcc_lo, v0, v127
	s_delay_alu instid0(VALU_DEP_1)
	v_add_co_ci_u32_e64 v3, null, v3, v128, vcc_lo
	.loc	1 58 21 is_stmt 1               ; attention_bwd.py:58:21 @[ attention_bwd.py:200:26 ]
	global_load_u16 v34, v[2:3], off
	s_and_b32 vcc_lo, exec_lo, s0
	s_cbranch_vccnz .LBB0_35
.LBB0_109:
	.loc	1 38 23                         ; attention_bwd.py:38:23 @[ attention_bwd.py:200:26 ]
	scratch_load_b32 v0, off, off offset:1124 ; 4-byte Folded Reload
	s_waitcnt vmcnt(0)
	v_or_b32_e32 v0, s2, v0
	s_delay_alu instid0(VALU_DEP_1) | instskip(NEXT) | instid1(VALU_DEP_1)
	.loc	1 42 37                         ; attention_bwd.py:42:37 @[ attention_bwd.py:200:26 ]
	v_mul_lo_u32 v2, s10, v0
	.loc	1 42 19 is_stmt 0               ; attention_bwd.py:42:19 @[ attention_bwd.py:200:26 ]
	v_ashrrev_i32_e32 v3, 31, v2
	s_delay_alu instid0(VALU_DEP_1) | instskip(NEXT) | instid1(VALU_DEP_1)
	v_lshlrev_b64 v[2:3], 1, v[2:3]
	v_add_co_u32 v0, vcc_lo, s47, v2
	s_delay_alu instid0(VALU_DEP_1) | instskip(NEXT) | instid1(VALU_DEP_2)
	v_add_co_ci_u32_e64 v3, null, s48, v3, vcc_lo
	.loc	1 42 50                         ; attention_bwd.py:42:50 @[ attention_bwd.py:200:26 ]
	v_add_co_u32 v2, vcc_lo, v0, v127
	s_delay_alu instid0(VALU_DEP_1)
	v_add_co_ci_u32_e64 v3, null, v3, v128, vcc_lo
	.loc	1 58 21 is_stmt 1               ; attention_bwd.py:58:21 @[ attention_bwd.py:200:26 ]
	global_load_u16 v33, v[2:3], off
	v_dual_mov_b32 v35, 0 :: v_dual_mov_b32 v36, 0
	s_and_b32 vcc_lo, exec_lo, s0
	s_cbranch_vccnz .LBB0_36
.LBB0_110:
	.loc	1 38 23                         ; attention_bwd.py:38:23 @[ attention_bwd.py:200:26 ]
	scratch_load_b32 v0, off, off offset:1120 ; 4-byte Folded Reload
	s_waitcnt vmcnt(0)
	v_or_b32_e32 v0, s2, v0
	s_delay_alu instid0(VALU_DEP_1) | instskip(NEXT) | instid1(VALU_DEP_1)
	.loc	1 42 37                         ; attention_bwd.py:42:37 @[ attention_bwd.py:200:26 ]
	v_mul_lo_u32 v2, s10, v0
	.loc	1 42 19 is_stmt 0               ; attention_bwd.py:42:19 @[ attention_bwd.py:200:26 ]
	v_ashrrev_i32_e32 v3, 31, v2
	s_delay_alu instid0(VALU_DEP_1) | instskip(NEXT) | instid1(VALU_DEP_1)
	v_lshlrev_b64 v[2:3], 1, v[2:3]
	v_add_co_u32 v0, vcc_lo, s47, v2
	s_delay_alu instid0(VALU_DEP_1) | instskip(NEXT) | instid1(VALU_DEP_2)
	v_add_co_ci_u32_e64 v3, null, s48, v3, vcc_lo
	.loc	1 42 50                         ; attention_bwd.py:42:50 @[ attention_bwd.py:200:26 ]
	v_add_co_u32 v2, vcc_lo, v0, v127
	s_delay_alu instid0(VALU_DEP_1)
	v_add_co_ci_u32_e64 v3, null, v3, v128, vcc_lo
	.loc	1 58 21 is_stmt 1               ; attention_bwd.py:58:21 @[ attention_bwd.py:200:26 ]
	global_load_u16 v36, v[2:3], off
	s_and_b32 vcc_lo, exec_lo, s0
	s_cbranch_vccnz .LBB0_37
.LBB0_111:
	.loc	1 38 23                         ; attention_bwd.py:38:23 @[ attention_bwd.py:200:26 ]
	scratch_load_b32 v0, off, off offset:1116 ; 4-byte Folded Reload
	s_waitcnt vmcnt(0)
	v_or_b32_e32 v0, s2, v0
	s_delay_alu instid0(VALU_DEP_1) | instskip(NEXT) | instid1(VALU_DEP_1)
	.loc	1 42 37                         ; attention_bwd.py:42:37 @[ attention_bwd.py:200:26 ]
	v_mul_lo_u32 v2, s10, v0
	.loc	1 42 19 is_stmt 0               ; attention_bwd.py:42:19 @[ attention_bwd.py:200:26 ]
	v_ashrrev_i32_e32 v3, 31, v2
	s_delay_alu instid0(VALU_DEP_1) | instskip(NEXT) | instid1(VALU_DEP_1)
	v_lshlrev_b64 v[2:3], 1, v[2:3]
	v_add_co_u32 v0, vcc_lo, s47, v2
	s_delay_alu instid0(VALU_DEP_1) | instskip(NEXT) | instid1(VALU_DEP_2)
	v_add_co_ci_u32_e64 v3, null, s48, v3, vcc_lo
	.loc	1 42 50                         ; attention_bwd.py:42:50 @[ attention_bwd.py:200:26 ]
	v_add_co_u32 v2, vcc_lo, v0, v127
	s_delay_alu instid0(VALU_DEP_1)
	v_add_co_ci_u32_e64 v3, null, v3, v128, vcc_lo
	.loc	1 58 21 is_stmt 1               ; attention_bwd.py:58:21 @[ attention_bwd.py:200:26 ]
	global_load_u16 v35, v[2:3], off
	v_dual_mov_b32 v37, 0 :: v_dual_mov_b32 v38, 0
	s_and_b32 vcc_lo, exec_lo, s0
	s_cbranch_vccnz .LBB0_38
.LBB0_112:
	.loc	1 38 23                         ; attention_bwd.py:38:23 @[ attention_bwd.py:200:26 ]
	scratch_load_b32 v0, off, off offset:1084 ; 4-byte Folded Reload
	s_waitcnt vmcnt(0)
	v_or_b32_e32 v0, s2, v0
	s_delay_alu instid0(VALU_DEP_1) | instskip(NEXT) | instid1(VALU_DEP_1)
	.loc	1 42 37                         ; attention_bwd.py:42:37 @[ attention_bwd.py:200:26 ]
	v_mul_lo_u32 v2, s10, v0
	.loc	1 42 19 is_stmt 0               ; attention_bwd.py:42:19 @[ attention_bwd.py:200:26 ]
	v_ashrrev_i32_e32 v3, 31, v2
	s_delay_alu instid0(VALU_DEP_1) | instskip(NEXT) | instid1(VALU_DEP_1)
	v_lshlrev_b64 v[2:3], 1, v[2:3]
	v_add_co_u32 v0, vcc_lo, s47, v2
	s_delay_alu instid0(VALU_DEP_1) | instskip(NEXT) | instid1(VALU_DEP_2)
	v_add_co_ci_u32_e64 v3, null, s48, v3, vcc_lo
	.loc	1 42 50                         ; attention_bwd.py:42:50 @[ attention_bwd.py:200:26 ]
	v_add_co_u32 v2, vcc_lo, v0, v127
	s_delay_alu instid0(VALU_DEP_1)
	v_add_co_ci_u32_e64 v3, null, v3, v128, vcc_lo
	.loc	1 58 21 is_stmt 1               ; attention_bwd.py:58:21 @[ attention_bwd.py:200:26 ]
	global_load_u16 v38, v[2:3], off
	s_and_b32 vcc_lo, exec_lo, s0
	s_cbranch_vccnz .LBB0_39
.LBB0_113:
	.loc	1 38 23                         ; attention_bwd.py:38:23 @[ attention_bwd.py:200:26 ]
	scratch_load_b32 v0, off, off offset:1052 ; 4-byte Folded Reload
	s_waitcnt vmcnt(0)
	v_or_b32_e32 v0, s2, v0
	s_delay_alu instid0(VALU_DEP_1) | instskip(NEXT) | instid1(VALU_DEP_1)
	.loc	1 42 37                         ; attention_bwd.py:42:37 @[ attention_bwd.py:200:26 ]
	v_mul_lo_u32 v2, s10, v0
	.loc	1 42 19 is_stmt 0               ; attention_bwd.py:42:19 @[ attention_bwd.py:200:26 ]
	v_ashrrev_i32_e32 v3, 31, v2
	s_delay_alu instid0(VALU_DEP_1) | instskip(NEXT) | instid1(VALU_DEP_1)
	v_lshlrev_b64 v[2:3], 1, v[2:3]
	v_add_co_u32 v0, vcc_lo, s47, v2
	s_delay_alu instid0(VALU_DEP_1) | instskip(NEXT) | instid1(VALU_DEP_2)
	v_add_co_ci_u32_e64 v3, null, s48, v3, vcc_lo
	.loc	1 42 50                         ; attention_bwd.py:42:50 @[ attention_bwd.py:200:26 ]
	v_add_co_u32 v2, vcc_lo, v0, v127
	s_delay_alu instid0(VALU_DEP_1)
	v_add_co_ci_u32_e64 v3, null, v3, v128, vcc_lo
	.loc	1 58 21 is_stmt 1               ; attention_bwd.py:58:21 @[ attention_bwd.py:200:26 ]
	global_load_u16 v37, v[2:3], off
	v_dual_mov_b32 v39, 0 :: v_dual_mov_b32 v40, 0
	s_and_b32 vcc_lo, exec_lo, s0
	s_cbranch_vccnz .LBB0_40
.LBB0_114:
	.loc	1 38 23                         ; attention_bwd.py:38:23 @[ attention_bwd.py:200:26 ]
	scratch_load_b32 v0, off, off offset:1020 ; 4-byte Folded Reload
	s_waitcnt vmcnt(0)
	v_or_b32_e32 v0, s2, v0
	s_delay_alu instid0(VALU_DEP_1) | instskip(NEXT) | instid1(VALU_DEP_1)
	.loc	1 42 37                         ; attention_bwd.py:42:37 @[ attention_bwd.py:200:26 ]
	v_mul_lo_u32 v2, s10, v0
	.loc	1 42 19 is_stmt 0               ; attention_bwd.py:42:19 @[ attention_bwd.py:200:26 ]
	v_ashrrev_i32_e32 v3, 31, v2
	s_delay_alu instid0(VALU_DEP_1) | instskip(NEXT) | instid1(VALU_DEP_1)
	v_lshlrev_b64 v[2:3], 1, v[2:3]
	v_add_co_u32 v0, vcc_lo, s47, v2
	s_delay_alu instid0(VALU_DEP_1) | instskip(NEXT) | instid1(VALU_DEP_2)
	v_add_co_ci_u32_e64 v3, null, s48, v3, vcc_lo
	.loc	1 42 50                         ; attention_bwd.py:42:50 @[ attention_bwd.py:200:26 ]
	v_add_co_u32 v2, vcc_lo, v0, v127
	s_delay_alu instid0(VALU_DEP_1)
	v_add_co_ci_u32_e64 v3, null, v3, v128, vcc_lo
	.loc	1 58 21 is_stmt 1               ; attention_bwd.py:58:21 @[ attention_bwd.py:200:26 ]
	global_load_u16 v40, v[2:3], off
	s_and_b32 vcc_lo, exec_lo, s0
	s_cbranch_vccnz .LBB0_41
.LBB0_115:
	.loc	1 38 23                         ; attention_bwd.py:38:23 @[ attention_bwd.py:200:26 ]
	scratch_load_b32 v0, off, off offset:988 ; 4-byte Folded Reload
	s_waitcnt vmcnt(0)
	v_or_b32_e32 v0, s2, v0
	s_delay_alu instid0(VALU_DEP_1) | instskip(NEXT) | instid1(VALU_DEP_1)
	.loc	1 42 37                         ; attention_bwd.py:42:37 @[ attention_bwd.py:200:26 ]
	v_mul_lo_u32 v2, s10, v0
	.loc	1 42 19 is_stmt 0               ; attention_bwd.py:42:19 @[ attention_bwd.py:200:26 ]
	v_ashrrev_i32_e32 v3, 31, v2
	s_delay_alu instid0(VALU_DEP_1) | instskip(NEXT) | instid1(VALU_DEP_1)
	v_lshlrev_b64 v[2:3], 1, v[2:3]
	v_add_co_u32 v0, vcc_lo, s47, v2
	s_delay_alu instid0(VALU_DEP_1) | instskip(NEXT) | instid1(VALU_DEP_2)
	v_add_co_ci_u32_e64 v3, null, s48, v3, vcc_lo
	.loc	1 42 50                         ; attention_bwd.py:42:50 @[ attention_bwd.py:200:26 ]
	v_add_co_u32 v2, vcc_lo, v0, v127
	s_delay_alu instid0(VALU_DEP_1)
	v_add_co_ci_u32_e64 v3, null, v3, v128, vcc_lo
	.loc	1 58 21 is_stmt 1               ; attention_bwd.py:58:21 @[ attention_bwd.py:200:26 ]
	global_load_u16 v39, v[2:3], off
	v_dual_mov_b32 v17, 0 :: v_dual_mov_b32 v18, 0
	s_and_b32 vcc_lo, exec_lo, s0
	s_cbranch_vccnz .LBB0_42
.LBB0_116:
	.loc	1 38 23                         ; attention_bwd.py:38:23 @[ attention_bwd.py:200:26 ]
	scratch_load_b32 v0, off, off offset:984 ; 4-byte Folded Reload
	s_waitcnt vmcnt(0)
	v_or_b32_e32 v0, s2, v0
	s_delay_alu instid0(VALU_DEP_1) | instskip(NEXT) | instid1(VALU_DEP_1)
	.loc	1 42 37                         ; attention_bwd.py:42:37 @[ attention_bwd.py:200:26 ]
	v_mul_lo_u32 v2, s10, v0
	.loc	1 42 19 is_stmt 0               ; attention_bwd.py:42:19 @[ attention_bwd.py:200:26 ]
	v_ashrrev_i32_e32 v3, 31, v2
	s_delay_alu instid0(VALU_DEP_1) | instskip(NEXT) | instid1(VALU_DEP_1)
	v_lshlrev_b64 v[2:3], 1, v[2:3]
	v_add_co_u32 v0, vcc_lo, s47, v2
	s_delay_alu instid0(VALU_DEP_1) | instskip(NEXT) | instid1(VALU_DEP_2)
	v_add_co_ci_u32_e64 v3, null, s48, v3, vcc_lo
	.loc	1 42 50                         ; attention_bwd.py:42:50 @[ attention_bwd.py:200:26 ]
	v_add_co_u32 v2, vcc_lo, v0, v127
	s_delay_alu instid0(VALU_DEP_1)
	v_add_co_ci_u32_e64 v3, null, v3, v128, vcc_lo
	.loc	1 58 21 is_stmt 1               ; attention_bwd.py:58:21 @[ attention_bwd.py:200:26 ]
	global_load_u16 v18, v[2:3], off
	s_and_b32 vcc_lo, exec_lo, s0
	s_cbranch_vccnz .LBB0_43
.LBB0_117:
	.loc	1 38 23                         ; attention_bwd.py:38:23 @[ attention_bwd.py:200:26 ]
	scratch_load_b32 v0, off, off offset:980 ; 4-byte Folded Reload
	s_waitcnt vmcnt(0)
	v_or_b32_e32 v0, s2, v0
	s_delay_alu instid0(VALU_DEP_1) | instskip(NEXT) | instid1(VALU_DEP_1)
	.loc	1 42 37                         ; attention_bwd.py:42:37 @[ attention_bwd.py:200:26 ]
	v_mul_lo_u32 v2, s10, v0
	.loc	1 42 19 is_stmt 0               ; attention_bwd.py:42:19 @[ attention_bwd.py:200:26 ]
	v_ashrrev_i32_e32 v3, 31, v2
	s_delay_alu instid0(VALU_DEP_1) | instskip(NEXT) | instid1(VALU_DEP_1)
	v_lshlrev_b64 v[2:3], 1, v[2:3]
	v_add_co_u32 v0, vcc_lo, s47, v2
	s_delay_alu instid0(VALU_DEP_1) | instskip(NEXT) | instid1(VALU_DEP_2)
	v_add_co_ci_u32_e64 v3, null, s48, v3, vcc_lo
	.loc	1 42 50                         ; attention_bwd.py:42:50 @[ attention_bwd.py:200:26 ]
	v_add_co_u32 v2, vcc_lo, v0, v127
	s_delay_alu instid0(VALU_DEP_1)
	v_add_co_ci_u32_e64 v3, null, v3, v128, vcc_lo
	.loc	1 58 21 is_stmt 1               ; attention_bwd.py:58:21 @[ attention_bwd.py:200:26 ]
	global_load_u16 v17, v[2:3], off
	v_dual_mov_b32 v19, 0 :: v_dual_mov_b32 v20, 0
	s_and_b32 vcc_lo, exec_lo, s0
	s_cbranch_vccnz .LBB0_44
.LBB0_118:
	.loc	1 38 23                         ; attention_bwd.py:38:23 @[ attention_bwd.py:200:26 ]
	scratch_load_b32 v0, off, off offset:1176 ; 4-byte Folded Reload
	s_waitcnt vmcnt(0)
	v_or_b32_e32 v0, s2, v0
	s_delay_alu instid0(VALU_DEP_1) | instskip(NEXT) | instid1(VALU_DEP_1)
	.loc	1 42 37                         ; attention_bwd.py:42:37 @[ attention_bwd.py:200:26 ]
	v_mul_lo_u32 v2, s10, v0
	.loc	1 42 19 is_stmt 0               ; attention_bwd.py:42:19 @[ attention_bwd.py:200:26 ]
	v_ashrrev_i32_e32 v3, 31, v2
	s_delay_alu instid0(VALU_DEP_1) | instskip(NEXT) | instid1(VALU_DEP_1)
	v_lshlrev_b64 v[2:3], 1, v[2:3]
	v_add_co_u32 v0, vcc_lo, s47, v2
	s_delay_alu instid0(VALU_DEP_1) | instskip(NEXT) | instid1(VALU_DEP_2)
	v_add_co_ci_u32_e64 v3, null, s48, v3, vcc_lo
	.loc	1 42 50                         ; attention_bwd.py:42:50 @[ attention_bwd.py:200:26 ]
	v_add_co_u32 v2, vcc_lo, v0, v127
	s_delay_alu instid0(VALU_DEP_1)
	v_add_co_ci_u32_e64 v3, null, v3, v128, vcc_lo
	.loc	1 58 21 is_stmt 1               ; attention_bwd.py:58:21 @[ attention_bwd.py:200:26 ]
	global_load_u16 v20, v[2:3], off
	s_and_b32 vcc_lo, exec_lo, s0
	s_cbranch_vccnz .LBB0_45
.LBB0_119:
	.loc	1 38 23                         ; attention_bwd.py:38:23 @[ attention_bwd.py:200:26 ]
	scratch_load_b32 v0, off, off offset:1172 ; 4-byte Folded Reload
	s_waitcnt vmcnt(0)
	v_or_b32_e32 v0, s2, v0
	s_delay_alu instid0(VALU_DEP_1) | instskip(NEXT) | instid1(VALU_DEP_1)
	.loc	1 42 37                         ; attention_bwd.py:42:37 @[ attention_bwd.py:200:26 ]
	v_mul_lo_u32 v2, s10, v0
	.loc	1 42 19 is_stmt 0               ; attention_bwd.py:42:19 @[ attention_bwd.py:200:26 ]
	v_ashrrev_i32_e32 v3, 31, v2
	s_delay_alu instid0(VALU_DEP_1) | instskip(NEXT) | instid1(VALU_DEP_1)
	v_lshlrev_b64 v[2:3], 1, v[2:3]
	v_add_co_u32 v0, vcc_lo, s47, v2
	s_delay_alu instid0(VALU_DEP_1) | instskip(NEXT) | instid1(VALU_DEP_2)
	v_add_co_ci_u32_e64 v3, null, s48, v3, vcc_lo
	.loc	1 42 50                         ; attention_bwd.py:42:50 @[ attention_bwd.py:200:26 ]
	v_add_co_u32 v2, vcc_lo, v0, v127
	s_delay_alu instid0(VALU_DEP_1)
	v_add_co_ci_u32_e64 v3, null, v3, v128, vcc_lo
	.loc	1 58 21 is_stmt 1               ; attention_bwd.py:58:21 @[ attention_bwd.py:200:26 ]
	global_load_u16 v19, v[2:3], off
	v_dual_mov_b32 v21, 0 :: v_dual_mov_b32 v22, 0
	s_and_b32 vcc_lo, exec_lo, s0
	s_cbranch_vccnz .LBB0_46
.LBB0_120:
	.loc	1 38 23                         ; attention_bwd.py:38:23 @[ attention_bwd.py:200:26 ]
	scratch_load_b32 v0, off, off offset:1168 ; 4-byte Folded Reload
	s_waitcnt vmcnt(0)
	v_or_b32_e32 v0, s2, v0
	s_delay_alu instid0(VALU_DEP_1) | instskip(NEXT) | instid1(VALU_DEP_1)
	.loc	1 42 37                         ; attention_bwd.py:42:37 @[ attention_bwd.py:200:26 ]
	v_mul_lo_u32 v2, s10, v0
	.loc	1 42 19 is_stmt 0               ; attention_bwd.py:42:19 @[ attention_bwd.py:200:26 ]
	v_ashrrev_i32_e32 v3, 31, v2
	s_delay_alu instid0(VALU_DEP_1) | instskip(NEXT) | instid1(VALU_DEP_1)
	v_lshlrev_b64 v[2:3], 1, v[2:3]
	v_add_co_u32 v0, vcc_lo, s47, v2
	s_delay_alu instid0(VALU_DEP_1) | instskip(NEXT) | instid1(VALU_DEP_2)
	v_add_co_ci_u32_e64 v3, null, s48, v3, vcc_lo
	.loc	1 42 50                         ; attention_bwd.py:42:50 @[ attention_bwd.py:200:26 ]
	v_add_co_u32 v2, vcc_lo, v0, v127
	s_delay_alu instid0(VALU_DEP_1)
	v_add_co_ci_u32_e64 v3, null, v3, v128, vcc_lo
	.loc	1 58 21 is_stmt 1               ; attention_bwd.py:58:21 @[ attention_bwd.py:200:26 ]
	global_load_u16 v22, v[2:3], off
	s_and_b32 vcc_lo, exec_lo, s0
	s_cbranch_vccnz .LBB0_47
.LBB0_121:
	.loc	1 38 23                         ; attention_bwd.py:38:23 @[ attention_bwd.py:200:26 ]
	scratch_load_b32 v0, off, off offset:1164 ; 4-byte Folded Reload
	s_waitcnt vmcnt(0)
	v_or_b32_e32 v0, s2, v0
	s_delay_alu instid0(VALU_DEP_1) | instskip(NEXT) | instid1(VALU_DEP_1)
	.loc	1 42 37                         ; attention_bwd.py:42:37 @[ attention_bwd.py:200:26 ]
	v_mul_lo_u32 v2, s10, v0
	.loc	1 42 19 is_stmt 0               ; attention_bwd.py:42:19 @[ attention_bwd.py:200:26 ]
	v_ashrrev_i32_e32 v3, 31, v2
	s_delay_alu instid0(VALU_DEP_1) | instskip(NEXT) | instid1(VALU_DEP_1)
	v_lshlrev_b64 v[2:3], 1, v[2:3]
	v_add_co_u32 v0, vcc_lo, s47, v2
	s_delay_alu instid0(VALU_DEP_1) | instskip(NEXT) | instid1(VALU_DEP_2)
	v_add_co_ci_u32_e64 v3, null, s48, v3, vcc_lo
	.loc	1 42 50                         ; attention_bwd.py:42:50 @[ attention_bwd.py:200:26 ]
	v_add_co_u32 v2, vcc_lo, v0, v127
	s_delay_alu instid0(VALU_DEP_1)
	v_add_co_ci_u32_e64 v3, null, v3, v128, vcc_lo
	.loc	1 58 21 is_stmt 1               ; attention_bwd.py:58:21 @[ attention_bwd.py:200:26 ]
	global_load_u16 v21, v[2:3], off
	v_dual_mov_b32 v23, 0 :: v_dual_mov_b32 v24, 0
	s_and_b32 vcc_lo, exec_lo, s0
	s_cbranch_vccnz .LBB0_48
.LBB0_122:
	.loc	1 38 23                         ; attention_bwd.py:38:23 @[ attention_bwd.py:200:26 ]
	scratch_load_b32 v0, off, off offset:1132 ; 4-byte Folded Reload
	s_waitcnt vmcnt(0)
	v_or_b32_e32 v0, s2, v0
	s_delay_alu instid0(VALU_DEP_1) | instskip(NEXT) | instid1(VALU_DEP_1)
	.loc	1 42 37                         ; attention_bwd.py:42:37 @[ attention_bwd.py:200:26 ]
	v_mul_lo_u32 v2, s10, v0
	.loc	1 42 19 is_stmt 0               ; attention_bwd.py:42:19 @[ attention_bwd.py:200:26 ]
	v_ashrrev_i32_e32 v3, 31, v2
	s_delay_alu instid0(VALU_DEP_1) | instskip(NEXT) | instid1(VALU_DEP_1)
	v_lshlrev_b64 v[2:3], 1, v[2:3]
	v_add_co_u32 v0, vcc_lo, s47, v2
	s_delay_alu instid0(VALU_DEP_1) | instskip(NEXT) | instid1(VALU_DEP_2)
	v_add_co_ci_u32_e64 v3, null, s48, v3, vcc_lo
	.loc	1 42 50                         ; attention_bwd.py:42:50 @[ attention_bwd.py:200:26 ]
	v_add_co_u32 v2, vcc_lo, v0, v127
	s_delay_alu instid0(VALU_DEP_1)
	v_add_co_ci_u32_e64 v3, null, v3, v128, vcc_lo
	.loc	1 58 21 is_stmt 1               ; attention_bwd.py:58:21 @[ attention_bwd.py:200:26 ]
	global_load_u16 v24, v[2:3], off
	s_and_b32 vcc_lo, exec_lo, s0
	s_cbranch_vccz .LBB0_49
	s_branch .LBB0_50
.LBB0_123:
	.loc	1 51 20                         ; attention_bwd.py:51:20 @[ attention_bwd.py:200:26 ]
	global_load_b32 v248, v[141:142], off offset:8
	v_dual_mov_b32 v2, 0 :: v_dual_mov_b32 v3, 0
	s_and_b32 vcc_lo, exec_lo, s0
	s_cbranch_vccnz .LBB0_54
.LBB0_124:
	global_load_b32 v3, v[141:142], off offset:16
	s_and_b32 vcc_lo, exec_lo, s0
	s_cbranch_vccnz .LBB0_55
.LBB0_125:
	global_load_b32 v2, v[141:142], off offset:24
	v_dual_mov_b32 v6, 0 :: v_dual_mov_b32 v7, 0
	s_and_b32 vcc_lo, exec_lo, s0
	s_cbranch_vccnz .LBB0_56
.LBB0_126:
	global_load_b32 v7, v[141:142], off offset:32
	s_and_b32 vcc_lo, exec_lo, s0
	s_cbranch_vccz .LBB0_57
	s_branch .LBB0_58
.LBB0_127:
	.loc	1 64 21                         ; attention_bwd.py:64:21 @[ attention_bwd.py:200:26 ]
	global_load_b32 v6, v[249:250], off offset:8
	v_mov_b32_e32 v130, 0
	v_mov_b32_e32 v0, 0
	s_and_b32 vcc_lo, exec_lo, s0
	s_cbranch_vccnz .LBB0_82
.LBB0_128:
	global_load_b32 v0, v[249:250], off offset:16
	s_and_b32 vcc_lo, exec_lo, s0
	scratch_store_b32 off, v5, off offset:1208 ; 4-byte Folded Spill
	s_cbranch_vccnz .LBB0_83
.LBB0_129:
	global_load_b32 v130, v[249:250], off offset:24
	v_dual_mov_b32 v2, 0 :: v_dual_mov_b32 v7, 0
	s_and_b32 vcc_lo, exec_lo, s0
	s_cbranch_vccnz .LBB0_84
.LBB0_130:
	global_load_b32 v7, v[249:250], off offset:32
	s_and_b32 vcc_lo, exec_lo, s0
	s_cbranch_vccz .LBB0_85
	s_branch .LBB0_86
.LBB0_131:
	global_load_b32 v5, v[249:250], off offset:56
	v_mov_b32_e32 v2, 0
	v_mov_b32_e32 v0, 0
	s_and_b32 vcc_lo, exec_lo, s0
	s_cbranch_vccnz .LBB0_90
.LBB0_132:
	global_load_b32 v0, v[249:250], off offset:64
	s_and_b32 vcc_lo, exec_lo, s0
	s_waitcnt vmcnt(1)
	scratch_store_b32 off, v5, off offset:1172 ; 4-byte Folded Spill
	s_cbranch_vccnz .LBB0_91
.LBB0_133:
	global_load_b32 v2, v[249:250], off offset:72
	v_dual_mov_b32 v5, 0 :: v_dual_mov_b32 v6, 0
	s_and_b32 vcc_lo, exec_lo, s0
	s_cbranch_vccz .LBB0_92
	s_branch .LBB0_93
.LBB0_134:
	.loc	1 0 21 is_stmt 0                ; attention_bwd.py:0:21
	v_dual_mov_b32 v234, v248 :: v_dual_mov_b32 v235, v253
	s_clause 0x9                            ; 88-byte Folded Reload
	scratch_load_b32 v236, off, off offset:872
	scratch_load_b32 v237, off, off offset:904
	;; [unrolled: 1-line block ×6, first 2 shown]
	scratch_load_b128 v[203:206], off, off offset:164
	scratch_load_b128 v[207:210], off, off offset:180
	;; [unrolled: 1-line block ×4, first 2 shown]
	s_clause 0x4                            ; 20-byte Folded Spill
	scratch_store_b32 off, v1, off offset:984
	scratch_store_b32 off, v6, off offset:980
	;; [unrolled: 1-line block ×5, first 2 shown]
.LBB0_135:                              ; %Flow2653
	s_clause 0xd                            ; 224-byte Folded Spill
	scratch_store_b128 off, v[185:188], off offset:716
	scratch_store_b128 off, v[189:192], off offset:732
	;; [unrolled: 1-line block ×14, first 2 shown]
	.loc	1 69 26 is_stmt 1               ; attention_bwd.py:69:26 @[ attention_bwd.py:200:26 ]
	s_waitcnt vmcnt(0) lgkmcnt(0)
	s_waitcnt_vscnt null, 0x0
	s_barrier
	buffer_gl0_inv
	v_dual_mov_b32 v25, v89 :: v_dual_mov_b32 v26, v90
	s_clause 0x1                            ; 32-byte Folded Spill
	scratch_store_b128 off, v[105:108], off offset:4
	scratch_store_b128 off, v[109:112], off offset:20
	v_dual_mov_b32 v27, v91 :: v_dual_mov_b32 v28, v92
	v_dual_mov_b32 v29, v93 :: v_dual_mov_b32 v30, v94
	v_dual_mov_b32 v31, v95 :: v_dual_mov_b32 v32, v96
	s_clause 0xc                            ; 196-byte Folded Reload
	scratch_load_b128 v[89:92], off, off offset:588
	scratch_load_b128 v[93:96], off, off offset:604
	;; [unrolled: 1-line block ×4, first 2 shown]
	scratch_load_b32 v49, off, off offset:1620
	scratch_load_b128 v[65:68], off, off offset:36
	scratch_load_b128 v[69:72], off, off offset:52
	;; [unrolled: 1-line block ×8, first 2 shown]
	v_dual_mov_b32 v33, v97 :: v_dual_mov_b32 v34, v98
	v_dual_mov_b32 v154, 0 :: v_dual_mov_b32 v155, 0
	;; [unrolled: 1-line block ×20, first 2 shown]
	.loc	1 52 24                         ; attention_bwd.py:52:24 @[ attention_bwd.py:200:26 ]
	s_and_b32 vcc_lo, exec_lo, s0
	s_cbranch_vccnz .LBB0_137
; %bb.136:
	.loc	1 48 21                         ; attention_bwd.py:48:21 @[ attention_bwd.py:200:26 ]
	ds_load_u16 v5, v240 offset:640
	ds_load_u16 v173, v240 offset:416
	;; [unrolled: 1-line block ×9, first 2 shown]
	v_dual_mov_b32 v8, v177 :: v_dual_mov_b32 v9, v178
	v_dual_mov_b32 v10, v179 :: v_dual_mov_b32 v11, v180
	v_dual_mov_b32 v12, v181 :: v_dual_mov_b32 v13, v182
	v_dual_mov_b32 v14, v183 :: v_dual_mov_b32 v15, v184
	s_mov_b32 s24, 0
	ds_load_u16 v177, v240 offset:928
	ds_load_u16 v176, v240 offset:800
	;; [unrolled: 1-line block ×4, first 2 shown]
	s_waitcnt lgkmcnt(12)
	ds_load_u16_d16_hi v5, v240 offset:704
	s_waitcnt lgkmcnt(12)
	ds_load_u16_d16_hi v173, v240 offset:480
	ds_load_u16 v2, v240 offset:256
	ds_load_u16 v170, v240 offset:32
	ds_load_u16 v0, v240
	ds_load_u16 v171, v240 offset:160
	s_waitcnt lgkmcnt(16)
	ds_load_u16_d16_hi v4, v240 offset:576
	s_waitcnt lgkmcnt(16)
	ds_load_u16_d16_hi v3, v240 offset:448
	ds_load_u16 v179, v240 offset:1152
	s_waitcnt lgkmcnt(17)
	ds_load_u16_d16_hi v6, v240 offset:832
	s_waitcnt lgkmcnt(16)
	ds_load_u16_d16_hi v175, v240 offset:736
	;; [unrolled: 2-line block ×3, first 2 shown]
	.loc	1 52 24                         ; attention_bwd.py:52:24 @[ attention_bwd.py:200:26 ]
	s_mov_b32 s31, s24
	s_mov_b32 s25, s24
	;; [unrolled: 1-line block ×7, first 2 shown]
	s_delay_alu instid0(SALU_CYCLE_1)
	v_dual_mov_b32 v153, s31 :: v_dual_mov_b32 v152, s30
	v_dual_mov_b32 v151, s29 :: v_dual_mov_b32 v150, s28
	;; [unrolled: 1-line block ×3, first 2 shown]
	.loc	1 48 21                         ; attention_bwd.py:48:21 @[ attention_bwd.py:200:26 ]
	s_waitcnt lgkmcnt(15)
	ds_load_u16_d16_hi v177, v240 offset:992
	s_waitcnt lgkmcnt(15)
	ds_load_u16_d16_hi v176, v240 offset:864
	ds_load_u16 v186, v240 offset:1056
	s_waitcnt lgkmcnt(16)
	ds_load_u16_d16_hi v178, v240 offset:1088
	ds_load_u16_d16_hi v7, v240 offset:960
	s_waitcnt lgkmcnt(17)
	ds_load_u16_d16_hi v1, v240 offset:192
	s_waitcnt lgkmcnt(14)
	;; [unrolled: 2-line block ×3, first 2 shown]
	ds_load_u16_d16_hi v0, v240 offset:64
	ds_load_u16_d16_hi v2, v240 offset:320
	;; [unrolled: 1-line block ×3, first 2 shown]
	s_waitcnt lgkmcnt(16)
	ds_load_u16_d16_hi v171, v240 offset:224
	.loc	1 52 24                         ; attention_bwd.py:52:24 @[ attention_bwd.py:200:26 ]
	v_dual_mov_b32 v147, s25 :: v_dual_mov_b32 v146, s24
	s_waitcnt lgkmcnt(2)
	s_delay_alu instid0(VALU_DEP_1)
	v_wmma_f32_16x16x16_f16 v[154:161], v[0:7], v[203:210], v[146:153]
	v_wmma_f32_16x16x16_f16 v[162:169], v[0:7], v[195:202], v[146:153]
	.loc	1 48 21                         ; attention_bwd.py:48:21 @[ attention_bwd.py:200:26 ]
	ds_load_u16 v193, v240 offset:1952
	ds_load_u16 v0, v240 offset:2048
	;; [unrolled: 1-line block ×12, first 2 shown]
	.loc	1 52 24                         ; attention_bwd.py:52:24 @[ attention_bwd.py:200:26 ]
	s_waitcnt lgkmcnt(12)
	v_wmma_f32_16x16x16_f16 v[137:144], v[170:177], v[203:210], v[146:153]
	v_wmma_f32_16x16x16_f16 v[146:153], v[170:177], v[195:202], v[146:153]
	.loc	1 48 21                         ; attention_bwd.py:48:21 @[ attention_bwd.py:200:26 ]
	ds_load_u16 v201, v240 offset:4000
	ds_load_u16 v2, v240 offset:2304
	s_waitcnt lgkmcnt(13)
	ds_load_u16_d16_hi v193, v240 offset:2016
	s_waitcnt lgkmcnt(13)
	ds_load_u16_d16_hi v0, v240 offset:2112
	ds_load_u16 v184, v240 offset:1792
	ds_load_u16 v187, v240 offset:1184
	;; [unrolled: 1-line block ×3, first 2 shown]
	s_waitcnt lgkmcnt(16)
	ds_load_u16_d16_hi v181, v240 offset:1472
	s_waitcnt lgkmcnt(16)
	ds_load_u16_d16_hi v188, v240 offset:1376
	;; [unrolled: 2-line block ×7, first 2 shown]
	ds_load_u16 v172, v240 offset:2336
	ds_load_u16 v170, v240 offset:2080
	s_waitcnt lgkmcnt(17)
	ds_load_u16_d16_hi v192, v240 offset:1888
	s_waitcnt lgkmcnt(17)
	ds_load_u16_d16_hi v191, v240 offset:1760
	;; [unrolled: 2-line block ×5, first 2 shown]
	ds_load_u16_d16_hi v179, v240 offset:1216
	ds_load_u16_d16_hi v186, v240 offset:1120
	.loc	1 52 24                         ; attention_bwd.py:52:24 @[ attention_bwd.py:200:26 ]
	s_waitcnt vmcnt(0) lgkmcnt(1)
	v_wmma_f32_16x16x16_f16 v[154:161], v[178:185], v[113:120], v[154:161]
	v_wmma_f32_16x16x16_f16 v[162:169], v[178:185], v[105:112], v[162:169]
	.loc	1 48 21                         ; attention_bwd.py:48:21 @[ attention_bwd.py:200:26 ]
	ds_load_u16 v178, v240 offset:3072
	ds_load_u16 v179, v240 offset:3200
	;; [unrolled: 1-line block ×16, first 2 shown]
	ds_load_u16_d16_hi v201, v240 offset:4064
	ds_load_u16 v183, v240 offset:3712
	ds_load_u16 v7, v240 offset:2944
	;; [unrolled: 1-line block ×6, first 2 shown]
	.loc	1 52 24                         ; attention_bwd.py:52:24 @[ attention_bwd.py:200:26 ]
	s_waitcnt lgkmcnt(23)
	v_wmma_f32_16x16x16_f16 v[137:144], v[186:193], v[113:120], v[137:144]
	v_wmma_f32_16x16x16_f16 v[146:153], v[186:193], v[105:112], v[146:153]
	.loc	1 48 21                         ; attention_bwd.py:48:21 @[ attention_bwd.py:200:26 ]
	s_waitcnt lgkmcnt(19)
	ds_load_u16_d16_hi v177, v240 offset:3040
	ds_load_u16 v6, v240 offset:2816
	ds_load_u16 v199, v240 offset:3744
	s_waitcnt lgkmcnt(20)
	ds_load_u16_d16_hi v3, v240 offset:2496
	ds_load_u16_d16_hi v172, v240 offset:2400
	ds_load_u16_d16_hi v178, v240 offset:3136
	s_waitcnt lgkmcnt(22)
	ds_load_u16_d16_hi v4, v240 offset:2624
	s_waitcnt lgkmcnt(22)
	ds_load_u16_d16_hi v173, v240 offset:2528
	ds_load_u16 v194, v240 offset:3104
	ds_load_u16 v195, v240 offset:3232
	s_waitcnt lgkmcnt(21)
	ds_load_u16_d16_hi v181, v240 offset:3520
	ds_load_u16_d16_hi v196, v240 offset:3424
	;; [unrolled: 1-line block ×4, first 2 shown]
	s_waitcnt lgkmcnt(19)
	ds_load_u16_d16_hi v183, v240 offset:3776
	ds_load_u16_d16_hi v198, v240 offset:3680
	s_waitcnt lgkmcnt(19)
	ds_load_u16_d16_hi v5, v240 offset:2752
	s_waitcnt lgkmcnt(19)
	ds_load_u16_d16_hi v174, v240 offset:2656
	ds_load_u16_d16_hi v7, v240 offset:3008
	s_waitcnt lgkmcnt(20)
	ds_load_u16_d16_hi v176, v240 offset:2912
	s_waitcnt lgkmcnt(20)
	;; [unrolled: 2-line block ×3, first 2 shown]
	ds_load_u16_d16_hi v6, v240 offset:2880
	ds_load_u16_d16_hi v2, v240 offset:2368
	;; [unrolled: 1-line block ×5, first 2 shown]
	s_waitcnt lgkmcnt(23)
	ds_load_u16_d16_hi v199, v240 offset:3808
	ds_load_u16_d16_hi v184, v240 offset:3904
	;; [unrolled: 1-line block ×6, first 2 shown]
	s_waitcnt lgkmcnt(22)
	ds_load_u16_d16_hi v195, v240 offset:3296
	ds_load_u16_d16_hi v194, v240 offset:3168
	.loc	1 52 24                         ; attention_bwd.py:52:24 @[ attention_bwd.py:200:26 ]
	s_waitcnt lgkmcnt(9)
	v_wmma_f32_16x16x16_f16 v[137:144], v[170:177], v[73:80], v[137:144]
	s_waitcnt lgkmcnt(8)
	v_wmma_f32_16x16x16_f16 v[154:161], v[0:7], v[73:80], v[154:161]
	v_wmma_f32_16x16x16_f16 v[162:169], v[0:7], v[65:72], v[162:169]
	s_clause 0x1                            ; 32-byte Folded Reload
	scratch_load_b128 v[0:3], off, off offset:452
	scratch_load_b128 v[4:7], off, off offset:468
	v_wmma_f32_16x16x16_f16 v[146:153], v[170:177], v[65:72], v[146:153]
	s_waitcnt vmcnt(0) lgkmcnt(2)
	v_wmma_f32_16x16x16_f16 v[154:161], v[178:185], v[0:7], v[154:161]
	s_waitcnt lgkmcnt(0)
	v_wmma_f32_16x16x16_f16 v[137:144], v[194:201], v[0:7], v[137:144]
	s_clause 0x1                            ; 32-byte Folded Reload
	scratch_load_b128 v[0:3], off, off offset:420
	scratch_load_b128 v[4:7], off, off offset:436
	s_waitcnt vmcnt(0)
	v_wmma_f32_16x16x16_f16 v[162:169], v[178:185], v[0:7], v[162:169]
	v_dual_mov_b32 v184, v15 :: v_dual_mov_b32 v183, v14
	v_dual_mov_b32 v182, v13 :: v_dual_mov_b32 v181, v12
	;; [unrolled: 1-line block ×4, first 2 shown]
	v_wmma_f32_16x16x16_f16 v[146:153], v[194:201], v[0:7], v[146:153]
.LBB0_137:
	.loc	1 53 32                         ; attention_bwd.py:53:32 @[ attention_bwd.py:200:26 ]
	v_dual_sub_f32 v0, v154, v235 :: v_dual_sub_f32 v1, v155, v234
	v_dual_sub_f32 v6, v160, v253 :: v_dual_sub_f32 v7, v161, v250
	;; [unrolled: 1-line block ×3, first 2 shown]
	s_clause 0xa                            ; 92-byte Folded Reload
	scratch_load_b32 v248, off, off offset:1124
	scratch_load_b32 v9, off, off offset:1128
	;; [unrolled: 1-line block ×7, first 2 shown]
	scratch_load_b128 v[217:220], off, off offset:4
	scratch_load_b128 v[221:224], off, off offset:20
	;; [unrolled: 1-line block ×4, first 2 shown]
	v_dual_sub_f32 v2, v156, v237 :: v_dual_sub_f32 v3, v157, v236
	v_dual_sub_f32 v4, v158, v249 :: v_dual_sub_f32 v5, v159, v238
	.loc	1 53 26 is_stmt 0               ; attention_bwd.py:53:26 @[ attention_bwd.py:200:26 ]
	s_waitcnt vmcnt(16)
	v_exp_f32_e32 v74, v0
	s_waitcnt vmcnt(11)
	v_exp_f32_e32 v118, v1
	.loc	1 53 32                         ; attention_bwd.py:53:32 @[ attention_bwd.py:200:26 ]
	v_dual_sub_f32 v8, v162, v235 :: v_dual_sub_f32 v133, v164, v237
	v_dual_sub_f32 v132, v163, v234 :: v_dual_sub_f32 v135, v165, v236
	.loc	1 53 26                         ; attention_bwd.py:53:26 @[ attention_bwd.py:200:26 ]
	v_exp_f32_e32 v75, v2
	v_exp_f32_e32 v119, v3
	;; [unrolled: 1-line block ×6, first 2 shown]
	.loc	1 53 32                         ; attention_bwd.py:53:32 @[ attention_bwd.py:200:26 ]
	v_dual_sub_f32 v136, v166, v249 :: v_dual_sub_f32 v145, v167, v238
	.loc	1 53 26                         ; attention_bwd.py:53:26 @[ attention_bwd.py:200:26 ]
	v_exp_f32_e32 v98, v8
	v_exp_f32_e32 v99, v133
	;; [unrolled: 1-line block ×3, first 2 shown]
	.loc	1 61 21 is_stmt 1               ; attention_bwd.py:61:21 @[ attention_bwd.py:200:26 ]
	v_cvt_f16_f32_e32 v0, v74
	v_cvt_f16_f32_e32 v1, v118
	.loc	1 53 26                         ; attention_bwd.py:53:26 @[ attention_bwd.py:200:26 ]
	v_exp_f32_e32 v100, v136
	v_exp_f32_e32 v56, v145
	;; [unrolled: 1-line block ×4, first 2 shown]
	.loc	1 61 21                         ; attention_bwd.py:61:21 @[ attention_bwd.py:200:26 ]
	v_cvt_f16_f32_e32 v2, v75
	v_cvt_f16_f32_e32 v3, v119
	;; [unrolled: 1-line block ×3, first 2 shown]
	v_cvt_f16_f32_e64 v5, v252
	v_cvt_f16_f32_e32 v6, v77
	v_cvt_f16_f32_e32 v7, v121
	v_pack_b32_f16 v238, v0, v1
	v_pack_b32_f16 v249, v2, v3
	;; [unrolled: 1-line block ×3, first 2 shown]
	v_cvt_f16_f32_e32 v4, v98
	v_pack_b32_f16 v192, v6, v7
	v_cvt_f16_f32_e32 v6, v99
	s_mov_b32 s3, 0x76543210
	v_dual_mov_b32 v105, v41 :: v_dual_mov_b32 v106, v42
	v_dual_mov_b32 v107, v43 :: v_dual_mov_b32 v108, v44
	;; [unrolled: 1-line block ×34, first 2 shown]
	v_mov_b32_e32 v247, 0
	v_permlanex16_b32 v236, v238, s3, 0xfedcba98 op_sel:[1,0]
	v_permlanex16_b32 v237, v249, s3, 0xfedcba98 op_sel:[1,0]
	;; [unrolled: 1-line block ×4, first 2 shown]
	.loc	1 66 24                         ; attention_bwd.py:66:24 @[ attention_bwd.py:200:26 ]
	s_and_b32 vcc_lo, exec_lo, s0
	.loc	1 53 32                         ; attention_bwd.py:53:32 @[ attention_bwd.py:200:26 ]
	v_sub_f32_e32 v138, v138, v130
	v_dual_sub_f32 v147, v147, v130 :: v_dual_mov_b32 v154, 0
	s_delay_alu instid0(VALU_DEP_2) | instskip(NEXT) | instid1(VALU_DEP_1)
	.loc	1 53 26 is_stmt 0               ; attention_bwd.py:53:26 @[ attention_bwd.py:200:26 ]
	v_exp_f32_e32 v122, v138
	v_exp_f32_e32 v102, v147
	s_waitcnt vmcnt(10)
	v_dual_mov_b32 v138, 0 :: v_dual_sub_f32 v137, v137, v248
	.loc	1 53 32                         ; attention_bwd.py:53:32 @[ attention_bwd.py:200:26 ]
	s_waitcnt vmcnt(9)
	v_sub_f32_e32 v139, v139, v9
	s_waitcnt vmcnt(7)
	v_dual_sub_f32 v140, v140, v253 :: v_dual_sub_f32 v141, v141, v11
	s_waitcnt vmcnt(5)
	v_dual_sub_f32 v143, v143, v13 :: v_dual_sub_f32 v144, v144, v12
	;; [unrolled: 2-line block ×3, first 2 shown]
	v_sub_f32_e32 v150, v150, v11
	.loc	1 53 26                         ; attention_bwd.py:53:26 @[ attention_bwd.py:200:26 ]
	v_exp_f32_e32 v80, v141
	v_exp_f32_e32 v97, v143
	s_delay_alu instid0(VALU_DEP_2)
	v_exp_f32_e32 v251, v142
	v_exp_f32_e32 v125, v144
	;; [unrolled: 1-line block ×3, first 2 shown]
	.loc	1 53 32                         ; attention_bwd.py:53:32 @[ attention_bwd.py:200:26 ]
	v_sub_f32_e32 v146, v146, v248
	v_dual_sub_f32 v148, v148, v9 :: v_dual_sub_f32 v151, v151, v10
	v_dual_sub_f32 v152, v152, v13 :: v_dual_sub_f32 v153, v153, v12
	.loc	1 53 26                         ; attention_bwd.py:53:26 @[ attention_bwd.py:200:26 ]
	v_exp_f32_e32 v78, v137
	.loc	1 61 21 is_stmt 1               ; attention_bwd.py:61:21 @[ attention_bwd.py:200:26 ]
	v_cvt_f16_f32_e64 v136, v80
	v_cvt_f16_f32_e64 v0, v251
	.loc	1 53 26                         ; attention_bwd.py:53:26 @[ attention_bwd.py:200:26 ]
	v_exp_f32_e32 v79, v139
	v_exp_f32_e32 v235, v140
	.loc	1 61 21                         ; attention_bwd.py:61:21 @[ attention_bwd.py:200:26 ]
	v_cvt_f16_f32_e32 v1, v97
	v_cvt_f16_f32_e32 v3, v125
	v_cvt_f16_f32_e64 v5, v253
	v_pack_b32_f16 v2, v136, v0
	v_cvt_f16_f32_e32 v0, v55
	.loc	1 53 26                         ; attention_bwd.py:53:26 @[ attention_bwd.py:200:26 ]
	v_exp_f32_e32 v114, v146
	v_exp_f32_e32 v239, v148
	;; [unrolled: 1-line block ×7, first 2 shown]
	.loc	1 61 21                         ; attention_bwd.py:61:21 @[ attention_bwd.py:200:26 ]
	v_cvt_f16_f32_e32 v8, v78
	v_cvt_f16_f32_e64 v132, v122
	v_pack_b32_f16 v17, v1, v3
	v_cvt_f16_f32_e32 v1, v100
	v_pack_b32_f16 v187, v4, v5
	v_cvt_f16_f32_e32 v3, v56
	;; [unrolled: 2-line block ×3, first 2 shown]
	v_cvt_f16_f32_e32 v4, v73
	v_cvt_f16_f32_e64 v133, v79
	v_cvt_f16_f32_e64 v135, v235
	v_pack_b32_f16 v9, v8, v132
	v_pack_b32_f16 v189, v1, v3
	;; [unrolled: 1-line block ×3, first 2 shown]
	v_cvt_f16_f32_e32 v0, v114
	v_cvt_f16_f32_e32 v1, v102
	v_cvt_f16_f32_e64 v3, v239
	v_cvt_f16_f32_e32 v4, v103
	v_cvt_f16_f32_e32 v5, v116
	;; [unrolled: 1-line block ×5, first 2 shown]
	v_pack_b32_f16 v186, v133, v135
	v_pack_b32_f16 v1, v0, v1
	;; [unrolled: 1-line block ×5, first 2 shown]
	v_dual_mov_b32 v135, 0 :: v_dual_mov_b32 v136, 0
	v_mov_b32_e32 v137, 0
	v_dual_mov_b32 v139, 0 :: v_dual_mov_b32 v140, 0
	v_dual_mov_b32 v141, 0 :: v_dual_mov_b32 v142, 0
	v_dual_mov_b32 v153, 0 :: v_dual_mov_b32 v248, 0
	v_permlanex16_b32 v22, v9, s3, 0xfedcba98 op_sel:[1,0]
	v_permlanex16_b32 v23, v186, s3, 0xfedcba98 op_sel:[1,0]
	;; [unrolled: 1-line block ×12, first 2 shown]
	s_cbranch_vccnz .LBB0_139
; %bb.138:
	.loc	1 0 21 is_stmt 0                ; attention_bwd.py:0:21
	s_clause 0x1                            ; 32-byte Folded Spill
	scratch_store_b128 off, v[89:92], off offset:588
	scratch_store_b128 off, v[93:96], off offset:604
	.loc	1 62 26 is_stmt 1               ; attention_bwd.py:62:26 @[ attention_bwd.py:200:26 ]
	s_clause 0x1                            ; 32-byte Folded Reload
	scratch_load_b128 v[169:172], off, off offset:588
	scratch_load_b128 v[173:176], off, off offset:604
	.loc	1 58 21                         ; attention_bwd.py:58:21 @[ attention_bwd.py:200:26 ]
	ds_load_u16 v159, v240 offset:5696
	ds_load_u16 v158, v240 offset:5440
	;; [unrolled: 1-line block ×3, first 2 shown]
	s_waitcnt vmcnt(4)
	ds_load_u16 v224, v240 offset:5888
	ds_load_u16 v223, v240 offset:5632
	;; [unrolled: 1-line block ×9, first 2 shown]
	.loc	1 61 21                         ; attention_bwd.py:61:21 @[ attention_bwd.py:200:26 ]
	v_perm_b32 v150, v185, v191, v254
	v_perm_b32 v149, v185, v191, v129
	scratch_store_b32 off, v121, off offset:36 ; 4-byte Folded Spill
	v_dual_mov_b32 v121, v1 :: v_dual_mov_b32 v112, v48
	s_clause 0x1                            ; 32-byte Folded Spill
	scratch_store_b128 off, v[177:180], off offset:804
	scratch_store_b128 off, v[181:184], off offset:820
	.loc	1 62 26                         ; attention_bwd.py:62:26 @[ attention_bwd.py:200:26 ]
	v_dual_mov_b32 v105, v41 :: v_dual_mov_b32 v126, v3
	v_dual_mov_b32 v3, v73 :: v_dual_mov_b32 v4, v74
	.loc	1 58 21                         ; attention_bwd.py:58:21 @[ attention_bwd.py:200:26 ]
	s_waitcnt lgkmcnt(11)
	ds_load_u16_d16_hi v159, v240 offset:5824
	s_waitcnt lgkmcnt(9)
	ds_load_u16_d16_hi v224, v240 offset:6016
	ds_load_u16_d16_hi v160, v240 offset:6080
	ds_load_u16 v219, v240 offset:4608
	s_waitcnt vmcnt(3)
	ds_load_u16 v226, v240 offset:4384
	v_dual_mov_b32 v5, v75 :: v_dual_mov_b32 v178, v78
	v_mov_b32_e32 v209, v76
	v_dual_mov_b32 v7, v77 :: v_dual_mov_b32 v180, v80
	ds_load_u16 v1, v240 offset:6144
	ds_load_u16 v185, v240 offset:6208
	s_waitcnt vmcnt(2)
	ds_load_u16 v232, v240 offset:5920
	ds_load_u16_d16_hi v158, v240 offset:5568
	ds_load_u16 v247, v240 offset:5728
	s_waitcnt lgkmcnt(17)
	ds_load_u16_d16_hi v223, v240 offset:5760
	ds_load_u16 v231, v240 offset:5664
	s_waitcnt lgkmcnt(18)
	;; [unrolled: 3-line block ×3, first 2 shown]
	ds_load_u16_d16_hi v222, v240 offset:5504
	ds_load_u16 v230, v240 offset:5408
	ds_load_u16 v245, v240 offset:5216
	;; [unrolled: 1-line block ×3, first 2 shown]
	s_waitcnt lgkmcnt(19)
	ds_load_u16_d16_hi v242, v240 offset:4576
	ds_load_u16 v218, v240 offset:4352
	ds_load_u16 v217, v240 offset:4096
	;; [unrolled: 1-line block ×6, first 2 shown]
	ds_load_u16_d16_hi v155, v240 offset:4800
	ds_load_u16 v227, v240 offset:4640
	ds_load_u16 v228, v240 offset:4896
	;; [unrolled: 1-line block ×3, first 2 shown]
	s_waitcnt lgkmcnt(29)
	ds_load_u16_d16_hi v156, v240 offset:5056
	ds_load_u16_d16_hi v221, v240 offset:5248
	ds_load_u16 v229, v240 offset:5152
	s_waitcnt lgkmcnt(22)
	ds_load_u16_d16_hi v247, v240 offset:5856
	v_dual_mov_b32 v179, v79 :: v_dual_mov_b32 v80, v64
	.loc	1 61 21                         ; attention_bwd.py:61:21 @[ attention_bwd.py:200:26 ]
	v_perm_b32 v152, v250, v192, v254
	v_perm_b32 v151, v250, v192, v129
	;; [unrolled: 1-line block ×4, first 2 shown]
	.loc	1 62 26                         ; attention_bwd.py:62:26 @[ attention_bwd.py:200:26 ]
	v_dual_mov_b32 v75, v59 :: v_dual_mov_b32 v250, v114
	v_dual_mov_b32 v73, v57 :: v_dual_mov_b32 v130, v116
	;; [unrolled: 1-line block ×5, first 2 shown]
	.loc	1 58 21                         ; attention_bwd.py:58:21 @[ attention_bwd.py:200:26 ]
	ds_load_u16 v177, v240 offset:6176
	ds_load_u16_d16_hi v232, v240 offset:6048
	s_waitcnt lgkmcnt(21)
	ds_load_u16_d16_hi v246, v240 offset:5600
	ds_load_u16 v248, v240 offset:5984
	ds_load_u16_d16_hi v231, v240 offset:5792
	s_waitcnt lgkmcnt(21)
	ds_load_u16_d16_hi v245, v240 offset:5344
	ds_load_u16_d16_hi v230, v240 offset:5536
	s_waitcnt lgkmcnt(19)
	ds_load_u16_d16_hi v217, v240 offset:4224
	s_waitcnt lgkmcnt(19)
	ds_load_u16_d16_hi v241, v240 offset:4320
	ds_load_u16_d16_hi v219, v240 offset:4736
	;; [unrolled: 1-line block ×5, first 2 shown]
	s_waitcnt lgkmcnt(21)
	ds_load_u16_d16_hi v220, v240 offset:4992
	s_waitcnt lgkmcnt(20)
	ds_load_u16_d16_hi v227, v240 offset:4768
	ds_load_u16_d16_hi v243, v240 offset:4832
	s_waitcnt lgkmcnt(21)
	ds_load_u16_d16_hi v228, v240 offset:5024
	s_waitcnt lgkmcnt(21)
	ds_load_u16_d16_hi v244, v240 offset:5088
	s_waitcnt lgkmcnt(19)
	ds_load_u16_d16_hi v229, v240 offset:5280
	ds_load_u16_d16_hi v225, v240 offset:4256
	;; [unrolled: 1-line block ×3, first 2 shown]
	.loc	1 62 26                         ; attention_bwd.py:62:26 @[ attention_bwd.py:200:26 ]
	v_dual_mov_b32 v96, v32 :: v_dual_mov_b32 v93, v29
	.loc	1 58 21                         ; attention_bwd.py:58:21 @[ attention_bwd.py:200:26 ]
	s_waitcnt lgkmcnt(17)
	ds_load_u16_d16_hi v248, v240 offset:6112
	.loc	1 61 21                         ; attention_bwd.py:61:21 @[ attention_bwd.py:200:26 ]
	v_perm_b32 v146, v236, v238, v254
	v_perm_b32 v145, v236, v238, v129
	.loc	1 62 26                         ; attention_bwd.py:62:26 @[ attention_bwd.py:200:26 ]
	v_dual_mov_b32 v111, v47 :: v_dual_mov_b32 v110, v46
	v_dual_mov_b32 v109, v45 :: v_dual_mov_b32 v108, v44
	;; [unrolled: 1-line block ×5, first 2 shown]
	v_mov_b32_e32 v74, v58
	v_dual_mov_b32 v118, v86 :: v_dual_mov_b32 v117, v85
	v_dual_mov_b32 v116, v84 :: v_dual_mov_b32 v115, v83
	;; [unrolled: 1-line block ×7, first 2 shown]
	.loc	1 66 24                         ; attention_bwd.py:66:24 @[ attention_bwd.py:200:26 ]
	s_mov_b32 s24, 0
	.loc	1 62 26                         ; attention_bwd.py:62:26 @[ attention_bwd.py:200:26 ]
	s_waitcnt lgkmcnt(8)
	v_wmma_f32_16x16x16_f16 v[105:112], v[217:224], v[145:152], v[105:112]
	s_waitcnt lgkmcnt(2)
	v_wmma_f32_16x16x16_f16 v[73:80], v[225:232], v[145:152], v[73:80]
	;; [unrolled: 2-line block ×4, first 2 shown]
	.loc	1 61 21                         ; attention_bwd.py:61:21 @[ attention_bwd.py:200:26 ]
	v_perm_b32 v152, v14, v190, v254
	v_perm_b32 v151, v14, v190, v129
	;; [unrolled: 1-line block ×8, first 2 shown]
	v_dual_mov_b32 v182, v98 :: v_dual_mov_b32 v183, v99
	v_dual_mov_b32 v187, v100 :: v_dual_mov_b32 v188, v101
	;; [unrolled: 1-line block ×3, first 2 shown]
	v_mov_b32_e32 v238, v104
	.loc	1 62 26                         ; attention_bwd.py:62:26 @[ attention_bwd.py:200:26 ]
	v_dual_mov_b32 v104, v40 :: v_dual_mov_b32 v101, v37
	v_dual_mov_b32 v103, v39 :: v_dual_mov_b32 v102, v38
	;; [unrolled: 1-line block ×3, first 2 shown]
	v_mov_b32_e32 v97, v33
	.loc	1 66 24                         ; attention_bwd.py:66:24 @[ attention_bwd.py:200:26 ]
	s_mov_b32 s25, s24
	s_mov_b32 s26, s24
	s_mov_b32 s27, s24
	s_mov_b32 s28, s24
	s_mov_b32 s29, s24
	s_mov_b32 s30, s24
	s_mov_b32 s31, s24
	.loc	1 62 26                         ; attention_bwd.py:62:26 @[ attention_bwd.py:200:26 ]
	v_mov_b32_e32 v98, v34
	s_clause 0x1                            ; 32-byte Folded Reload
	scratch_load_b128 v[65:68], off, off offset:356
	scratch_load_b128 v[69:72], off, off offset:372
	.loc	1 66 24                         ; attention_bwd.py:66:24 @[ attention_bwd.py:200:26 ]
	ds_load_b128 v[139:142], v131 offset:6160
	ds_load_b128 v[135:138], v131 offset:6144
	;; [unrolled: 1-line block ×5, first 2 shown]
	v_dual_mov_b32 v236, v55 :: v_dual_mov_b32 v237, v56
	v_dual_mov_b32 v56, v48 :: v_dual_mov_b32 v55, v47
	;; [unrolled: 1-line block ×13, first 2 shown]
	s_delay_alu instid0(VALU_DEP_3) | instskip(NEXT) | instid1(VALU_DEP_3)
	v_dual_mov_b32 v88, v64 :: v_dual_mov_b32 v87, v63
	v_dual_mov_b32 v84, v60 :: v_dual_mov_b32 v83, v59
	s_delay_alu instid0(VALU_DEP_3)
	v_dual_mov_b32 v86, v62 :: v_dual_mov_b32 v85, v61
	v_dual_mov_b32 v82, v58 :: v_dual_mov_b32 v81, v57
	v_dual_mov_b32 v64, v48 :: v_dual_mov_b32 v63, v47
	v_dual_mov_b32 v62, v46 :: v_dual_mov_b32 v61, v45
	v_dual_mov_b32 v60, v44 :: v_dual_mov_b32 v59, v43
	v_dual_mov_b32 v58, v42 :: v_dual_mov_b32 v57, v41
	v_dual_mov_b32 v41, v49 :: v_dual_mov_b32 v42, v50
	v_dual_mov_b32 v43, v51 :: v_dual_mov_b32 v44, v52
	v_dual_mov_b32 v45, v53 :: v_dual_mov_b32 v46, v54
	v_dual_mov_b32 v47, v55 :: v_dual_mov_b32 v48, v56
	v_dual_mov_b32 v49, v234 :: v_dual_mov_b32 v56, v237
	v_mov_b32_e32 v133, v9
	.loc	1 62 26                         ; attention_bwd.py:62:26 @[ attention_bwd.py:200:26 ]
	s_waitcnt vmcnt(2)
	v_wmma_f32_16x16x16_f16 v[169:176], v[241:248], v[145:152], v[169:176]
	.loc	1 66 24                         ; attention_bwd.py:66:24 @[ attention_bwd.py:200:26 ]
	v_dual_mov_b32 v248, s31 :: v_dual_mov_b32 v245, s28
	v_mov_b32_e32 v247, s30
	.loc	1 62 26                         ; attention_bwd.py:62:26 @[ attention_bwd.py:200:26 ]
	v_wmma_f32_16x16x16_f16 v[97:104], v[217:224], v[145:152], v[97:104]
	s_clause 0x1                            ; 32-byte Folded Reload
	scratch_load_b128 v[217:220], off, off offset:4
	scratch_load_b128 v[221:224], off, off offset:20
	.loc	1 66 24                         ; attention_bwd.py:66:24 @[ attention_bwd.py:200:26 ]
	v_dual_mov_b32 v246, s29 :: v_dual_mov_b32 v243, s26
	v_dual_mov_b32 v244, s27 :: v_dual_mov_b32 v241, s24
	v_mov_b32_e32 v242, s25
	.loc	1 62 26                         ; attention_bwd.py:62:26 @[ attention_bwd.py:200:26 ]
	s_waitcnt vmcnt(0)
	v_wmma_f32_16x16x16_f16 v[217:224], v[225:232], v[145:152], v[217:224]
	s_clause 0x1                            ; 32-byte Folded Reload
	scratch_load_b128 v[225:228], off, off offset:620
	scratch_load_b128 v[229:232], off, off offset:636
	s_waitcnt vmcnt(0)
	v_wmma_f32_16x16x16_f16 v[225:232], v[153:160], v[145:152], v[225:232]
	.loc	1 58 21                         ; attention_bwd.py:58:21 @[ attention_bwd.py:200:26 ]
	ds_load_u16 v191, v240 offset:7744
	ds_load_u16 v8, v240 offset:7936
	;; [unrolled: 1-line block ×3, first 2 shown]
	.loc	1 66 24                         ; attention_bwd.py:66:24 @[ attention_bwd.py:200:26 ]
	ds_load_b128 v[145:148], v131 offset:4096
	ds_load_b128 v[149:152], v131 offset:4112
	s_waitcnt lgkmcnt(8)
	v_wmma_f32_16x16x16_f16 v[153:160], v[135:142], v[65:72], v[241:248]
	.loc	1 58 21                         ; attention_bwd.py:58:21 @[ attention_bwd.py:200:26 ]
	s_waitcnt lgkmcnt(4)
	ds_load_u16_d16_hi v191, v240 offset:7872
	s_waitcnt lgkmcnt(4)
	ds_load_u16_d16_hi v8, v240 offset:8064
	;; [unrolled: 2-line block ×3, first 2 shown]
	ds_load_u16 v184, v240 offset:7968
	ds_load_u16 v143, v240 offset:8032
	.loc	1 66 24                         ; attention_bwd.py:66:24 @[ attention_bwd.py:200:26 ]
	s_waitcnt lgkmcnt(5)
	v_wmma_f32_16x16x16_f16 v[9:16], v[145:152], v[65:72], v[241:248]
	s_clause 0x1                            ; 32-byte Folded Reload
	scratch_load_b128 v[65:68], off, off offset:388
	scratch_load_b128 v[69:72], off, off offset:404
	.loc	1 58 21                         ; attention_bwd.py:58:21 @[ attention_bwd.py:200:26 ]
	s_waitcnt lgkmcnt(0)
	ds_load_u16_d16_hi v143, v240 offset:8160
	.loc	1 66 24                         ; attention_bwd.py:66:24 @[ attention_bwd.py:200:26 ]
	s_waitcnt vmcnt(0)
	v_wmma_f32_16x16x16_f16 v[161:168], v[145:152], v[65:72], v[241:248]
	v_wmma_f32_16x16x16_f16 v[241:248], v[135:142], v[65:72], v[241:248]
	s_clause 0x1                            ; 32-byte Folded Reload
	scratch_load_b128 v[65:68], off, off offset:292
	scratch_load_b128 v[69:72], off, off offset:308
	ds_load_b128 v[197:200], v131 offset:4144
	ds_load_b128 v[205:208], v131 offset:6192
	;; [unrolled: 1-line block ×4, first 2 shown]
	s_waitcnt vmcnt(0) lgkmcnt(3)
	v_wmma_f32_16x16x16_f16 v[9:16], v[193:200], v[65:72], v[9:16]
	s_waitcnt lgkmcnt(2)
	v_wmma_f32_16x16x16_f16 v[153:160], v[201:208], v[65:72], v[153:160]
	s_clause 0x1                            ; 32-byte Folded Reload
	scratch_load_b128 v[65:68], off, off offset:324
	scratch_load_b128 v[69:72], off, off offset:340
	s_waitcnt vmcnt(0)
	v_wmma_f32_16x16x16_f16 v[161:168], v[193:200], v[65:72], v[161:168]
	v_wmma_f32_16x16x16_f16 v[241:248], v[201:208], v[65:72], v[241:248]
	s_clause 0x1                            ; 32-byte Folded Reload
	scratch_load_b128 v[65:68], off, off offset:228
	scratch_load_b128 v[69:72], off, off offset:244
	v_dual_mov_b32 v208, v80 :: v_dual_mov_b32 v207, v79
	v_dual_mov_b32 v206, v78 :: v_dual_mov_b32 v205, v77
	;; [unrolled: 1-line block ×5, first 2 shown]
	ds_load_b128 v[139:142], v131 offset:4176
	ds_load_b128 v[148:151], v131 offset:6224
	;; [unrolled: 1-line block ×3, first 2 shown]
	v_dual_mov_b32 v78, v178 :: v_dual_mov_b32 v77, v7
	v_dual_mov_b32 v75, v5 :: v_dual_mov_b32 v74, v4
	;; [unrolled: 1-line block ×3, first 2 shown]
	ds_load_b128 v[193:196], v131 offset:6240
	ds_load_b128 v[197:200], v131 offset:6256
	s_waitcnt vmcnt(0) lgkmcnt(4)
	v_wmma_f32_16x16x16_f16 v[9:16], v[135:142], v[65:72], v[9:16]
	s_waitcnt lgkmcnt(3)
	v_wmma_f32_16x16x16_f16 v[153:160], v[144:151], v[65:72], v[153:160]
	s_clause 0x1                            ; 32-byte Folded Reload
	scratch_load_b128 v[65:68], off, off offset:260
	scratch_load_b128 v[69:72], off, off offset:276
	s_waitcnt vmcnt(0)
	v_wmma_f32_16x16x16_f16 v[161:168], v[135:142], v[65:72], v[161:168]
	v_wmma_f32_16x16x16_f16 v[241:248], v[144:151], v[65:72], v[241:248]
	v_dual_mov_b32 v65, v97 :: v_dual_mov_b32 v66, v98
	v_dual_mov_b32 v67, v99 :: v_dual_mov_b32 v68, v100
	v_dual_mov_b32 v69, v101 :: v_dual_mov_b32 v70, v102
	v_dual_mov_b32 v71, v103 :: v_dual_mov_b32 v72, v104
	v_dual_mov_b32 v104, v238 :: v_dual_mov_b32 v101, v188
	v_dual_mov_b32 v103, v190 :: v_dual_mov_b32 v102, v189
	v_dual_mov_b32 v100, v187 :: v_dual_mov_b32 v97, v181
	.loc	1 61 21                         ; attention_bwd.py:61:21 @[ attention_bwd.py:200:26 ]
	v_perm_b32 v151, v6, v17, v254
	v_perm_b32 v150, v6, v17, v129
	;; [unrolled: 1-line block ×6, first 2 shown]
	.loc	1 58 21                         ; attention_bwd.py:58:21 @[ attention_bwd.py:200:26 ]
	ds_load_u16 v190, v240 offset:7488
	ds_load_u16 v7, v240 offset:7680
	;; [unrolled: 1-line block ×11, first 2 shown]
	v_dual_mov_b32 v99, v183 :: v_dual_mov_b32 v98, v182
	s_waitcnt lgkmcnt(10)
	ds_load_u16_d16_hi v190, v240 offset:7616
	ds_load_u16 v142, v240 offset:7776
	s_waitcnt lgkmcnt(11)
	ds_load_u16_d16_hi v7, v240 offset:7808
	ds_load_u16 v183, v240 offset:7712
	s_waitcnt lgkmcnt(12)
	ds_load_u16_d16_hi v189, v240 offset:7360
	ds_load_u16 v141, v240 offset:7520
	s_waitcnt lgkmcnt(13)
	ds_load_u16_d16_hi v6, v240 offset:7552
	ds_load_u16 v182, v240 offset:7456
	s_waitcnt lgkmcnt(14)
	ds_load_u16_d16_hi v188, v240 offset:7104
	ds_load_u16 v140, v240 offset:7264
	s_waitcnt lgkmcnt(15)
	ds_load_u16_d16_hi v5, v240 offset:7296
	ds_load_u16 v181, v240 offset:7200
	s_waitcnt lgkmcnt(16)
	ds_load_u16_d16_hi v187, v240 offset:6848
	ds_load_u16 v139, v240 offset:7008
	s_waitcnt lgkmcnt(17)
	ds_load_u16_d16_hi v4, v240 offset:7040
	ds_load_u16 v180, v240 offset:6944
	s_waitcnt lgkmcnt(18)
	ds_load_u16_d16_hi v186, v240 offset:6592
	ds_load_u16 v138, v240 offset:6752
	s_waitcnt lgkmcnt(19)
	ds_load_u16_d16_hi v3, v240 offset:6784
	ds_load_u16 v179, v240 offset:6688
	ds_load_u16 v137, v240 offset:6496
	ds_load_u16_d16_hi v185, v240 offset:6336
	ds_load_u16 v136, v240 offset:6240
	s_waitcnt lgkmcnt(23)
	ds_load_u16_d16_hi v2, v240 offset:6528
	ds_load_u16 v178, v240 offset:6432
	ds_load_u16_d16_hi v1, v240 offset:6272
	s_waitcnt lgkmcnt(24)
	ds_load_u16_d16_hi v142, v240 offset:7904
	ds_load_u16_d16_hi v184, v240 offset:8096
	s_waitcnt lgkmcnt(22)
	ds_load_u16_d16_hi v141, v240 offset:7648
	;; [unrolled: 3-line block ×6, first 2 shown]
	ds_load_u16_d16_hi v179, v240 offset:6816
	ds_load_u16_d16_hi v177, v240 offset:6304
	s_waitcnt lgkmcnt(16)
	ds_load_u16_d16_hi v136, v240 offset:6368
	s_waitcnt lgkmcnt(15)
	ds_load_u16_d16_hi v178, v240 offset:6560
	.loc	1 61 21                         ; attention_bwd.py:61:21 @[ attention_bwd.py:200:26 ]
	v_perm_b32 v145, v22, v133, v254
	v_perm_b32 v144, v22, v133, v129
	.loc	1 62 26                         ; attention_bwd.py:62:26 @[ attention_bwd.py:200:26 ]
	s_waitcnt lgkmcnt(15)
	s_delay_alu instid0(VALU_DEP_1)
	v_wmma_f32_16x16x16_f16 v[105:112], v[1:8], v[144:151], v[105:112]
	v_wmma_f32_16x16x16_f16 v[113:120], v[185:192], v[144:151], v[113:120]
	v_mov_b32_e32 v55, v236
	s_waitcnt lgkmcnt(1)
	v_wmma_f32_16x16x16_f16 v[89:96], v[136:143], v[144:151], v[89:96]
	s_waitcnt lgkmcnt(0)
	v_wmma_f32_16x16x16_f16 v[201:208], v[177:184], v[144:151], v[201:208]
	.loc	1 61 21                         ; attention_bwd.py:61:21 @[ attention_bwd.py:200:26 ]
	v_perm_b32 v151, v21, v0, v254
	v_perm_b32 v150, v21, v0, v129
	;; [unrolled: 1-line block ×8, first 2 shown]
	scratch_load_b32 v121, off, off offset:36 ; 4-byte Folded Reload
	.loc	1 62 26                         ; attention_bwd.py:62:26 @[ attention_bwd.py:200:26 ]
	v_wmma_f32_16x16x16_f16 v[65:72], v[1:8], v[144:151], v[65:72]
	s_clause 0x1                            ; 32-byte Folded Reload
	scratch_load_b128 v[0:3], off, off offset:516
	scratch_load_b128 v[4:7], off, off offset:532
	v_wmma_f32_16x16x16_f16 v[169:176], v[136:143], v[144:151], v[169:176]
	v_dual_mov_b32 v142, v16 :: v_dual_mov_b32 v141, v15
	v_dual_mov_b32 v140, v14 :: v_dual_mov_b32 v139, v13
	;; [unrolled: 1-line block ×4, first 2 shown]
	v_wmma_f32_16x16x16_f16 v[217:224], v[177:184], v[144:151], v[217:224]
	s_clause 0x1                            ; 32-byte Folded Reload
	scratch_load_b128 v[177:180], off, off offset:804
	scratch_load_b128 v[181:184], off, off offset:820
	v_wmma_f32_16x16x16_f16 v[225:232], v[185:192], v[144:151], v[225:232]
	.loc	1 66 24                         ; attention_bwd.py:66:24 @[ attention_bwd.py:200:26 ]
	s_waitcnt vmcnt(2)
	v_wmma_f32_16x16x16_f16 v[135:142], v[209:216], v[0:7], v[135:142]
	v_wmma_f32_16x16x16_f16 v[153:160], v[193:200], v[0:7], v[153:160]
	s_clause 0x1                            ; 32-byte Folded Reload
	scratch_load_b128 v[0:3], off, off offset:484
	scratch_load_b128 v[4:7], off, off offset:500
	s_waitcnt vmcnt(0)
	v_wmma_f32_16x16x16_f16 v[161:168], v[209:216], v[0:7], v[161:168]
	v_dual_mov_b32 v216, v96 :: v_dual_mov_b32 v215, v95
	v_dual_mov_b32 v214, v94 :: v_dual_mov_b32 v213, v93
	;; [unrolled: 1-line block ×4, first 2 shown]
	s_clause 0x1                            ; 32-byte Folded Reload
	scratch_load_b128 v[89:92], off, off offset:588
	scratch_load_b128 v[93:96], off, off offset:604
	v_wmma_f32_16x16x16_f16 v[241:248], v[193:200], v[0:7], v[241:248]
	v_dual_mov_b32 v200, v120 :: v_dual_mov_b32 v199, v119
	v_dual_mov_b32 v198, v118 :: v_dual_mov_b32 v197, v117
	;; [unrolled: 1-line block ×5, first 2 shown]
	v_mov_b32_e32 v116, v130
	v_mov_b32_e32 v117, v134
	v_dual_mov_b32 v114, v250 :: v_dual_mov_b32 v113, v249
.LBB0_139:
	.loc	1 0 0 is_stmt 0                 ; attention_bwd.py:0 @[ attention_bwd.py:200:26 ]
	s_clause 0xd                            ; 56-byte Folded Reload
	scratch_load_b32 v0, off, off offset:1612
	scratch_load_b32 v13, off, off offset:1244
	;; [unrolled: 1-line block ×14, first 2 shown]
	.loc	1 69 26 is_stmt 1               ; attention_bwd.py:69:26 @[ attention_bwd.py:200:26 ]
	s_and_b32 vcc_lo, exec_lo, s0
	.loc	1 0 0 is_stmt 0                 ; attention_bwd.py:0 @[ attention_bwd.py:200:26 ]
	s_waitcnt vmcnt(13)
	v_add_nc_u32_e32 v185, v0, v49
	s_clause 0x2                            ; 12-byte Folded Reload
	scratch_load_b32 v49, off, off offset:1172
	scratch_load_b32 v15, off, off offset:1164
	;; [unrolled: 1-line block ×3, first 2 shown]
	.loc	1 67 26 is_stmt 1               ; attention_bwd.py:67:26 @[ attention_bwd.py:200:26 ]
	s_waitcnt vmcnt(14)
	v_dual_sub_f32 v0, v135, v13 :: v_dual_sub_f32 v1, v136, v131
	s_waitcnt vmcnt(13)
	v_sub_f32_e32 v2, v137, v14
	s_waitcnt vmcnt(10)
	v_dual_sub_f32 v3, v138, v130 :: v_dual_sub_f32 v4, v139, v16
	s_waitcnt vmcnt(6)
	v_dual_sub_f32 v132, v155, v12 :: v_dual_sub_f32 v137, v154, v9
	;; [unrolled: 2-line block ×4, first 2 shown]
	v_dual_sub_f32 v144, v164, v130 :: v_dual_sub_f32 v147, v165, v16
	v_sub_f32_e32 v152, v242, v9
	v_dual_sub_f32 v154, v244, v11 :: v_dual_sub_f32 v159, v245, v52
	.loc	1 68 21                         ; attention_bwd.py:68:21 @[ attention_bwd.py:200:26 ]
	v_fma_mixlo_f16 v164, v75, v2, 0
	v_fma_mixlo_f16 v165, v76, v4, 0
	;; [unrolled: 1-line block ×7, first 2 shown]
	v_fma_mixhi_f16 v164, v119, v3, 0
	v_fma_mixhi_f16 v136, v235, v138, 0
	;; [unrolled: 1-line block ×3, first 2 shown]
	scratch_store_b32 off, v185, off offset:1460 ; 4-byte Folded Spill
	.loc	1 67 26                         ; attention_bwd.py:67:26 @[ attention_bwd.py:200:26 ]
	v_sub_f32_e32 v6, v141, v50
	v_sub_f32_e32 v8, v153, v10
	;; [unrolled: 1-line block ×8, first 2 shown]
	.loc	1 68 21                         ; attention_bwd.py:68:21 @[ attention_bwd.py:200:26 ]
	v_fma_mixlo_f16 v163, v74, v0, 0
	v_fma_mixlo_f16 v133, v78, v8, 0
	;; [unrolled: 1-line block ×7, first 2 shown]
	v_fma_mixhi_f16 v163, v118, v1, 0
	v_permlanex16_b32 v153, v145, s3, 0xfedcba98 op_sel:[1,0]
	v_fma_mixhi_f16 v133, v122, v137, 0
	v_fma_mixhi_f16 v156, v55, v144, 0
	;; [unrolled: 1-line block ×4, first 2 shown]
	v_permlanex16_b32 v167, v163, s3, 0xfedcba98 op_sel:[1,0]
	v_permlanex16_b32 v152, v136, s3, 0xfedcba98 op_sel:[1,0]
	v_permlanex16_b32 v149, v133, s3, 0xfedcba98 op_sel:[1,0]
	v_permlanex16_b32 v147, v0, s3, 0xfedcba98 op_sel:[1,0]
	.loc	1 67 26                         ; attention_bwd.py:67:26 @[ attention_bwd.py:200:26 ]
	s_waitcnt vmcnt(2)
	v_sub_f32_e32 v7, v142, v49
	s_waitcnt vmcnt(1)
	v_sub_f32_e32 v5, v140, v15
	;; [unrolled: 2-line block ×3, first 2 shown]
	v_sub_f32_e32 v148, v166, v15
	v_sub_f32_e32 v150, v168, v49
	v_sub_f32_e32 v160, v246, v51
	v_sub_f32_e32 v142, v162, v131
	v_sub_f32_e32 v162, v248, v53
	.loc	1 68 21                         ; attention_bwd.py:68:21 @[ attention_bwd.py:200:26 ]
	v_fma_mixlo_f16 v166, v77, v6, 0
	v_fma_mixlo_f16 v155, v98, v141, 0
	v_fma_mixhi_f16 v165, v252, v5, 0
	v_fma_mixhi_f16 v146, v125, v140, 0
	;; [unrolled: 1-line block ×8, first 2 shown]
	v_permlanex16_b32 v168, v164, s3, 0xfedcba98 op_sel:[1,0]
	v_permlanex16_b32 v186, v165, s3, 0xfedcba98 op_sel:[1,0]
	;; [unrolled: 1-line block ×11, first 2 shown]
	s_cbranch_vccnz .LBB0_141
; %bb.140:
	.loc	1 0 21 is_stmt 0                ; attention_bwd.py:0:21
	s_clause 0xd                            ; 224-byte Folded Reload
	scratch_load_b128 v[9:12], off, off offset:840
	scratch_load_b128 v[13:16], off, off offset:856
	;; [unrolled: 1-line block ×14, first 2 shown]
	v_dual_mov_b32 v120, v72 :: v_dual_mov_b32 v119, v71
	v_dual_mov_b32 v118, v70 :: v_dual_mov_b32 v117, v69
	;; [unrolled: 1-line block ×4, first 2 shown]
	ds_load_b128 v[65:68], v185
	ds_load_b128 v[69:72], v185 offset:16
	ds_load_b128 v[73:76], v185 offset:1024
	;; [unrolled: 1-line block ×7, first 2 shown]
	.loc	1 68 21                         ; attention_bwd.py:68:21 @[ attention_bwd.py:200:26 ]
	v_perm_b32 v8, v187, v166, v254
	v_perm_b32 v7, v187, v166, v129
	;; [unrolled: 1-line block ×8, first 2 shown]
	.loc	1 0 0                           ; attention_bwd.py:0 @[ attention_bwd.py:200:26 ]
	ds_load_b128 v[97:100], v185 offset:3104
	ds_load_b128 v[101:104], v185 offset:3120
	.loc	1 69 26 is_stmt 1               ; attention_bwd.py:69:26 @[ attention_bwd.py:200:26 ]
	s_waitcnt vmcnt(12) lgkmcnt(8)
	v_wmma_f32_16x16x16_f16 v[9:16], v[65:72], v[1:8], v[9:16]
	s_waitcnt vmcnt(10) lgkmcnt(6)
	v_wmma_f32_16x16x16_f16 v[17:24], v[73:80], v[1:8], v[17:24]
	s_waitcnt vmcnt(8) lgkmcnt(4)
	v_wmma_f32_16x16x16_f16 v[25:32], v[81:88], v[1:8], v[25:32]
	s_waitcnt vmcnt(6) lgkmcnt(2)
	v_wmma_f32_16x16x16_f16 v[33:40], v[89:96], v[1:8], v[33:40]
	.loc	1 68 21                         ; attention_bwd.py:68:21 @[ attention_bwd.py:200:26 ]
	v_perm_b32 v8, v162, v158, v254
	v_perm_b32 v7, v162, v158, v129
	;; [unrolled: 1-line block ×8, first 2 shown]
	s_delay_alu instid0(VALU_DEP_1)
	.loc	1 69 26                         ; attention_bwd.py:69:26 @[ attention_bwd.py:200:26 ]
	v_wmma_f32_16x16x16_f16 v[177:184], v[65:72], v[1:8], v[177:184]
	.loc	1 0 0 is_stmt 0                 ; attention_bwd.py:0 @[ attention_bwd.py:200:26 ]
	ds_load_b128 v[65:68], v185 offset:32
	ds_load_b128 v[69:72], v185 offset:48
	.loc	1 69 26                         ; attention_bwd.py:69:26 @[ attention_bwd.py:200:26 ]
	s_waitcnt vmcnt(4)
	v_wmma_f32_16x16x16_f16 v[41:48], v[73:80], v[1:8], v[41:48]
	s_waitcnt vmcnt(2)
	v_wmma_f32_16x16x16_f16 v[49:56], v[81:88], v[1:8], v[49:56]
	;; [unrolled: 2-line block ×3, first 2 shown]
	.loc	1 0 0                           ; attention_bwd.py:0 @[ attention_bwd.py:200:26 ]
	ds_load_b128 v[1:4], v185 offset:1056
	ds_load_b128 v[5:8], v185 offset:1072
	ds_load_b128 v[81:84], v185 offset:2080
	ds_load_b128 v[85:88], v185 offset:2096
	.loc	1 68 21 is_stmt 1               ; attention_bwd.py:68:21 @[ attention_bwd.py:200:26 ]
	v_perm_b32 v80, v154, v146, v254
	v_perm_b32 v79, v154, v146, v129
	;; [unrolled: 1-line block ×16, first 2 shown]
	.loc	1 69 26                         ; attention_bwd.py:69:26 @[ attention_bwd.py:200:26 ]
	s_waitcnt lgkmcnt(4)
	v_wmma_f32_16x16x16_f16 v[9:16], v[65:72], v[73:80], v[9:16]
	v_wmma_f32_16x16x16_f16 v[33:40], v[97:104], v[73:80], v[33:40]
	s_waitcnt lgkmcnt(2)
	v_wmma_f32_16x16x16_f16 v[17:24], v[1:8], v[73:80], v[17:24]
	s_waitcnt lgkmcnt(0)
	v_wmma_f32_16x16x16_f16 v[25:32], v[81:88], v[73:80], v[25:32]
	v_wmma_f32_16x16x16_f16 v[177:184], v[65:72], v[89:96], v[177:184]
	v_dual_mov_b32 v65, v113 :: v_dual_mov_b32 v66, v114
	v_dual_mov_b32 v67, v115 :: v_dual_mov_b32 v68, v116
	;; [unrolled: 1-line block ×4, first 2 shown]
	v_wmma_f32_16x16x16_f16 v[41:48], v[1:8], v[89:96], v[41:48]
	v_wmma_f32_16x16x16_f16 v[49:56], v[81:88], v[89:96], v[49:56]
	;; [unrolled: 1-line block ×3, first 2 shown]
	s_branch .LBB0_142
.Ltmp105:
.LBB0_141:
	.loc	1 0 26 is_stmt 0                ; attention_bwd.py:0:26
	v_dual_mov_b32 v105, v41 :: v_dual_mov_b32 v106, v42
	v_dual_mov_b32 v107, v43 :: v_dual_mov_b32 v108, v44
	v_dual_mov_b32 v109, v45 :: v_dual_mov_b32 v110, v46
	v_dual_mov_b32 v111, v47 :: v_dual_mov_b32 v112, v48
	v_dual_mov_b32 v201, v57 :: v_dual_mov_b32 v202, v58
	v_dual_mov_b32 v203, v59 :: v_dual_mov_b32 v204, v60
	v_dual_mov_b32 v205, v61 :: v_dual_mov_b32 v206, v62
	v_dual_mov_b32 v207, v63 :: v_dual_mov_b32 v208, v64
	v_dual_mov_b32 v209, v25 :: v_dual_mov_b32 v210, v26
	v_dual_mov_b32 v211, v27 :: v_dual_mov_b32 v212, v28
	v_dual_mov_b32 v213, v29 :: v_dual_mov_b32 v214, v30
	v_dual_mov_b32 v215, v31 :: v_dual_mov_b32 v216, v32
	v_dual_mov_b32 v65, v33 :: v_dual_mov_b32 v66, v34
	v_dual_mov_b32 v67, v35 :: v_dual_mov_b32 v68, v36
	v_dual_mov_b32 v69, v37 :: v_dual_mov_b32 v70, v38
	v_dual_mov_b32 v71, v39 :: v_dual_mov_b32 v72, v40
	s_clause 0x11                           ; 288-byte Folded Reload
	scratch_load_b128 v[9:12], off, off offset:840
	scratch_load_b128 v[13:16], off, off offset:856
	scratch_load_b128 v[17:20], off, off offset:872
	scratch_load_b128 v[21:24], off, off offset:888
	scratch_load_b128 v[25:28], off, off offset:904
	scratch_load_b128 v[29:32], off, off offset:920
	scratch_load_b128 v[33:36], off, off offset:936
	scratch_load_b128 v[37:40], off, off offset:952
	scratch_load_b128 v[41:44], off, off offset:652
	scratch_load_b128 v[45:48], off, off offset:668
	scratch_load_b128 v[49:52], off, off offset:684
	scratch_load_b128 v[53:56], off, off offset:700
	scratch_load_b128 v[57:60], off, off offset:716
	scratch_load_b128 v[61:64], off, off offset:732
	scratch_load_b128 v[217:220], off, off offset:4
	scratch_load_b128 v[221:224], off, off offset:20
	scratch_load_b128 v[225:228], off, off offset:620
	scratch_load_b128 v[229:232], off, off offset:636
	v_dual_mov_b32 v193, v81 :: v_dual_mov_b32 v194, v82
	v_dual_mov_b32 v195, v83 :: v_dual_mov_b32 v196, v84
	;; [unrolled: 1-line block ×8, first 2 shown]
.LBB0_142:
	s_clause 0x1                            ; 8-byte Folded Reload
	scratch_load_b32 v250, off, off offset:2568
	scratch_load_b32 v239, off, off offset:2576
	.loc	1 205 22 is_stmt 1              ; attention_bwd.py:205:22
	v_cvt_f16_f32_e32 v95, v65
	v_cvt_f16_f32_e32 v94, v66
	v_cvt_f16_f32_e64 v66, v174
	v_cvt_f16_f32_e64 v65, v175
	;; [unrolled: 1-line block ×3, first 2 shown]
	.loc	1 210 22                        ; attention_bwd.py:210:22
	s_waitcnt vmcnt(19)
	v_fma_mixlo_f16 v176, s57, v9, 0
	v_fma_mixlo_f16 v132, s57, v10, 0
	v_fma_mixlo_f16 v133, s57, v11, 0
	v_fma_mixlo_f16 v134, s57, v12, 0
	s_waitcnt vmcnt(18)
	v_fma_mixlo_f16 v135, s57, v13, 0
	v_fma_mixlo_f16 v136, s57, v14, 0
	v_fma_mixlo_f16 v137, s57, v15, 0
	v_fma_mixlo_f16 v138, s57, v16, 0
	;; [unrolled: 5-line block ×5, first 2 shown]
	s_waitcnt vmcnt(14)
	v_fma_mixlo_f16 v151, s57, v29, 0
	v_fma_mixlo_f16 v152, s57, v30, 0
	.loc	1 153 10                        ; attention_bwd.py:153:10
	s_add_u32 s0, s20, s12
	s_addc_u32 s3, s21, s13
	.loc	1 154 10                        ; attention_bwd.py:154:10
	s_add_u32 s4, s22, s12
	s_addc_u32 s5, s23, s13
	.loc	1 205 22                        ; attention_bwd.py:205:22
	v_cvt_f16_f32_e32 v121, v105
	.loc	1 210 22                        ; attention_bwd.py:210:22
	v_fma_mixlo_f16 v153, s57, v31, 0
	.loc	1 205 22                        ; attention_bwd.py:205:22
	v_cvt_f16_f32_e32 v122, v106
	v_cvt_f16_f32_e32 v89, v71
	v_cvt_f16_f32_e64 v71, v169
	v_cvt_f16_f32_e32 v123, v107
	v_cvt_f16_f32_e32 v124, v108
	;; [unrolled: 1-line block ×4, first 2 shown]
	v_cvt_f16_f32_e64 v130, v111
	v_cvt_f16_f32_e32 v120, v112
	v_cvt_f16_f32_e32 v91, v69
	;; [unrolled: 1-line block ×3, first 2 shown]
	v_cvt_f16_f32_e64 v70, v170
	v_cvt_f16_f32_e64 v69, v171
	;; [unrolled: 1-line block ×24, first 2 shown]
	v_cvt_f16_f32_e32 v93, v67
	v_cvt_f16_f32_e32 v92, v68
	v_cvt_f16_f32_e64 v68, v172
	v_cvt_f16_f32_e64 v67, v173
	;; [unrolled: 1-line block ×4, first 2 shown]
	v_cvt_f16_f32_e32 v88, v72
	s_waitcnt vmcnt(5)
	v_cvt_f16_f32_e64 v87, v217
	v_cvt_f16_f32_e64 v86, v218
	v_cvt_f16_f32_e64 v85, v219
	v_cvt_f16_f32_e64 v84, v220
	s_waitcnt vmcnt(4)
	v_cvt_f16_f32_e64 v83, v221
	v_cvt_f16_f32_e64 v82, v222
	v_cvt_f16_f32_e64 v81, v223
	v_cvt_f16_f32_e64 v80, v224
	;; [unrolled: 5-line block ×4, first 2 shown]
	.loc	1 210 22                        ; attention_bwd.py:210:22
	v_fma_mixlo_f16 v154, s57, v32, 0
	v_fma_mixlo_f16 v155, s57, v33, 0
	;; [unrolled: 1-line block ×41, first 2 shown]
	s_clause 0xe                            ; 120-byte Folded Reload
	scratch_load_b64 v[207:208], off, off offset:2076
	scratch_load_b64 v[209:210], off, off offset:2084
	;; [unrolled: 1-line block ×15, first 2 shown]
	.loc	1 220 16                        ; attention_bwd.py:220:16
	s_mov_b32 s20, 0
	scratch_load_b64 v[205:206], off, off offset:2068 ; 8-byte Folded Reload
	s_mov_b32 s21, s20
	s_mov_b32 s22, s20
	;; [unrolled: 1-line block ×7, first 2 shown]
	scratch_load_b64 v[241:242], off, off offset:2204 ; 8-byte Folded Reload
	.loc	1 171 38                        ; attention_bwd.py:171:38
	s_waitcnt vmcnt(17)
	v_mul_lo_u32 v1, s10, v239
	s_delay_alu instid0(VALU_DEP_1) | instskip(NEXT) | instid1(VALU_DEP_1)
	.loc	1 204 19                        ; attention_bwd.py:204:19
	v_ashrrev_i32_e32 v2, 31, v1
	v_lshlrev_b64 v[174:175], 1, v[1:2]
	.loc	1 171 69                        ; attention_bwd.py:171:69
	v_mul_lo_u32 v1, s11, v233
	scratch_load_b64 v[233:234], off, off offset:2180 ; 8-byte Folded Reload
	.loc	1 204 19                        ; attention_bwd.py:204:19
	v_add_co_u32 v162, vcc_lo, s4, v174
	s_delay_alu instid0(VALU_DEP_1)
	v_add_co_ci_u32_e64 v163, null, s5, v175, vcc_lo
	.loc	1 171 69                        ; attention_bwd.py:171:69
	v_mad_u64_u32 v[3:4], null, s11, 6, v[1:2]
	v_mad_u64_u32 v[5:6], null, s11, 10, v[1:2]
	;; [unrolled: 1-line block ×14, first 2 shown]
	.loc	1 204 50                        ; attention_bwd.py:204:50
	v_ashrrev_i32_e32 v2, 31, v1
	v_ashrrev_i32_e32 v4, 31, v3
	;; [unrolled: 1-line block ×5, first 2 shown]
	v_lshlrev_b64 v[164:165], 1, v[1:2]
	v_lshlrev_b64 v[168:169], 1, v[3:4]
	;; [unrolled: 1-line block ×5, first 2 shown]
	v_ashrrev_i32_e32 v12, 31, v11
	v_add_co_u32 v30, vcc_lo, v162, v164
	s_delay_alu instid0(VALU_DEP_1) | instskip(NEXT) | instid1(VALU_DEP_3)
	v_add_co_ci_u32_e64 v31, null, v163, v165, vcc_lo
	v_lshlrev_b64 v[11:12], 1, v[11:12]
	v_ashrrev_i32_e32 v14, 31, v13
	v_ashrrev_i32_e32 v16, 31, v15
	.loc	1 205 22                        ; attention_bwd.py:205:22
	global_store_b16 v[30:31], v121, off
	.loc	1 171 69                        ; attention_bwd.py:171:69
	v_lshl_add_u32 v30, s11, 1, v1
	.loc	1 204 50                        ; attention_bwd.py:204:50
	v_ashrrev_i32_e32 v18, 31, v17
	v_lshlrev_b64 v[13:14], 1, v[13:14]
	v_lshlrev_b64 v[15:16], 1, v[15:16]
	v_ashrrev_i32_e32 v20, 31, v19
	v_ashrrev_i32_e32 v31, 31, v30
	v_lshlrev_b64 v[17:18], 1, v[17:18]
	v_ashrrev_i32_e32 v22, 31, v21
	v_ashrrev_i32_e32 v24, 31, v23
	v_lshlrev_b64 v[19:20], 1, v[19:20]
	v_lshlrev_b64 v[166:167], 1, v[30:31]
	v_ashrrev_i32_e32 v26, 31, v25
	v_lshlrev_b64 v[21:22], 1, v[21:22]
	v_lshlrev_b64 v[23:24], 1, v[23:24]
	v_ashrrev_i32_e32 v28, 31, v27
	s_clause 0x3                            ; 32-byte Folded Spill
	scratch_store_b64 off, v[5:6], off offset:1540
	scratch_store_b64 off, v[7:8], off offset:1556
	;; [unrolled: 1-line block ×4, first 2 shown]
	v_add_co_u32 v30, vcc_lo, v162, v166
	s_delay_alu instid0(VALU_DEP_1)
	v_add_co_ci_u32_e64 v31, null, v163, v167, vcc_lo
	v_lshlrev_b64 v[25:26], 1, v[25:26]
	v_lshlrev_b64 v[27:28], 1, v[27:28]
	s_clause 0x2                            ; 24-byte Folded Spill
	scratch_store_b64 off, v[13:14], off offset:1604
	scratch_store_b64 off, v[15:16], off offset:1628
	;; [unrolled: 1-line block ×3, first 2 shown]
	.loc	1 205 22                        ; attention_bwd.py:205:22
	global_store_b16 v[30:31], v122, off
	.loc	1 171 69                        ; attention_bwd.py:171:69
	v_add_nc_u32_e32 v30, s1, v1
	s_mov_b32 s1, 0x76543210
	s_clause 0x1                            ; 16-byte Folded Spill
	scratch_store_b64 off, v[23:24], off offset:2616
	scratch_store_b64 off, v[25:26], off offset:2632
	.loc	1 204 50                        ; attention_bwd.py:204:50
	v_ashrrev_i32_e32 v31, 31, v30
	s_delay_alu instid0(VALU_DEP_1) | instskip(NEXT) | instid1(VALU_DEP_1)
	v_lshlrev_b64 v[121:122], 1, v[30:31]
	v_add_co_u32 v30, vcc_lo, v162, v121
	s_delay_alu instid0(VALU_DEP_1) | instskip(SKIP_1) | instid1(VALU_DEP_1)
	v_add_co_ci_u32_e64 v31, null, v163, v122, vcc_lo
	v_add_co_u32 v2, vcc_lo, v162, v168
	v_add_co_ci_u32_e64 v3, null, v163, v169, vcc_lo
	.loc	1 205 22                        ; attention_bwd.py:205:22
	global_store_b16 v[30:31], v123, off
	.loc	1 204 50                        ; attention_bwd.py:204:50
	v_ashrrev_i32_e32 v30, 31, v29
	.loc	1 205 22                        ; attention_bwd.py:205:22
	global_store_b16 v[2:3], v124, off
	.loc	1 171 69                        ; attention_bwd.py:171:69
	v_add_nc_u32_e32 v2, s56, v1
	.loc	1 204 50                        ; attention_bwd.py:204:50
	v_lshlrev_b64 v[29:30], 1, v[29:30]
	s_delay_alu instid0(VALU_DEP_2) | instskip(SKIP_2) | instid1(VALU_DEP_1)
	v_ashrrev_i32_e32 v3, 31, v2
	scratch_store_b64 off, v[29:30], off offset:2664 ; 8-byte Folded Spill
	v_lshlrev_b64 v[123:124], 1, v[2:3]
	v_add_co_u32 v2, vcc_lo, v162, v123
	s_delay_alu instid0(VALU_DEP_1) | instskip(SKIP_2) | instid1(VALU_DEP_1)
	v_add_co_ci_u32_e64 v3, null, v163, v124, vcc_lo
	.loc	1 205 22                        ; attention_bwd.py:205:22
	global_store_b16 v[2:3], v125, off
	.loc	1 204 50                        ; attention_bwd.py:204:50
	v_add_co_u32 v2, vcc_lo, v162, v5
	v_add_co_ci_u32_e64 v3, null, v163, v6, vcc_lo
	.loc	1 205 22                        ; attention_bwd.py:205:22
	global_store_b16 v[2:3], v126, off
	.loc	1 171 69                        ; attention_bwd.py:171:69
	v_add_nc_u32_e32 v2, s6, v1
	s_delay_alu instid0(VALU_DEP_1) | instskip(NEXT) | instid1(VALU_DEP_1)
	.loc	1 204 50                        ; attention_bwd.py:204:50
	v_ashrrev_i32_e32 v3, 31, v2
	v_lshlrev_b64 v[125:126], 1, v[2:3]
	s_delay_alu instid0(VALU_DEP_1) | instskip(NEXT) | instid1(VALU_DEP_1)
	v_add_co_u32 v2, vcc_lo, v162, v125
	v_add_co_ci_u32_e64 v3, null, v163, v126, vcc_lo
	.loc	1 205 22                        ; attention_bwd.py:205:22
	global_store_b16 v[2:3], v130, off
	.loc	1 204 50                        ; attention_bwd.py:204:50
	v_add_co_u32 v2, vcc_lo, v162, v7
	s_delay_alu instid0(VALU_DEP_1) | instskip(SKIP_2) | instid1(VALU_DEP_1)
	v_add_co_ci_u32_e64 v3, null, v163, v8, vcc_lo
	.loc	1 205 22                        ; attention_bwd.py:205:22
	global_store_b16 v[2:3], v120, off
	.loc	1 171 69                        ; attention_bwd.py:171:69
	v_add_nc_u32_e32 v2, s55, v1
	.loc	1 204 50                        ; attention_bwd.py:204:50
	v_ashrrev_i32_e32 v3, 31, v2
	s_delay_alu instid0(VALU_DEP_1) | instskip(NEXT) | instid1(VALU_DEP_1)
	v_lshlrev_b64 v[170:171], 1, v[2:3]
	v_add_co_u32 v2, vcc_lo, v162, v170
	s_delay_alu instid0(VALU_DEP_1) | instskip(SKIP_2) | instid1(VALU_DEP_1)
	v_add_co_ci_u32_e64 v3, null, v163, v171, vcc_lo
	.loc	1 205 22                        ; attention_bwd.py:205:22
	global_store_b16 v[2:3], v119, off
	.loc	1 204 50                        ; attention_bwd.py:204:50
	v_add_co_u32 v2, vcc_lo, v162, v9
	v_add_co_ci_u32_e64 v3, null, v163, v10, vcc_lo
	.loc	1 205 22                        ; attention_bwd.py:205:22
	global_store_b16 v[2:3], v118, off
	.loc	1 171 69                        ; attention_bwd.py:171:69
	v_add_nc_u32_e32 v2, s7, v1
	s_delay_alu instid0(VALU_DEP_1) | instskip(NEXT) | instid1(VALU_DEP_1)
	.loc	1 204 50                        ; attention_bwd.py:204:50
	v_ashrrev_i32_e32 v3, 31, v2
	v_lshlrev_b64 v[118:119], 1, v[2:3]
	s_delay_alu instid0(VALU_DEP_1) | instskip(NEXT) | instid1(VALU_DEP_1)
	v_add_co_u32 v2, vcc_lo, v162, v118
	v_add_co_ci_u32_e64 v3, null, v163, v119, vcc_lo
	.loc	1 205 22                        ; attention_bwd.py:205:22
	global_store_b16 v[2:3], v117, off
	.loc	1 204 50                        ; attention_bwd.py:204:50
	v_add_co_u32 v2, vcc_lo, v162, v11
	s_delay_alu instid0(VALU_DEP_1) | instskip(SKIP_2) | instid1(VALU_DEP_1)
	v_add_co_ci_u32_e64 v3, null, v163, v12, vcc_lo
	.loc	1 205 22                        ; attention_bwd.py:205:22
	global_store_b16 v[2:3], v116, off
	.loc	1 171 69                        ; attention_bwd.py:171:69
	v_add_nc_u32_e32 v2, s54, v1
	.loc	1 204 50                        ; attention_bwd.py:204:50
	v_ashrrev_i32_e32 v3, 31, v2
	s_delay_alu instid0(VALU_DEP_1) | instskip(NEXT) | instid1(VALU_DEP_1)
	;; [unrolled: 33-line block ×5, first 2 shown]
	v_lshlrev_b64 v[104:105], 1, v[2:3]
	v_add_co_u32 v2, vcc_lo, v162, v104
	s_delay_alu instid0(VALU_DEP_1) | instskip(SKIP_2) | instid1(VALU_DEP_1)
	v_add_co_ci_u32_e64 v3, null, v163, v105, vcc_lo
	.loc	1 205 22                        ; attention_bwd.py:205:22
	global_store_b16 v[2:3], v103, off
	.loc	1 204 50                        ; attention_bwd.py:204:50
	v_add_co_u32 v2, vcc_lo, v162, v25
	v_add_co_ci_u32_e64 v3, null, v163, v26, vcc_lo
	.loc	1 205 22                        ; attention_bwd.py:205:22
	global_store_b16 v[2:3], v102, off
	.loc	1 171 69                        ; attention_bwd.py:171:69
	v_add_nc_u32_e32 v2, s60, v1
	s_delay_alu instid0(VALU_DEP_1) | instskip(NEXT) | instid1(VALU_DEP_1)
	.loc	1 204 50                        ; attention_bwd.py:204:50
	v_ashrrev_i32_e32 v3, 31, v2
	v_lshlrev_b64 v[102:103], 1, v[2:3]
	s_delay_alu instid0(VALU_DEP_1) | instskip(NEXT) | instid1(VALU_DEP_1)
	v_add_co_u32 v2, vcc_lo, v162, v102
	v_add_co_ci_u32_e64 v3, null, v163, v103, vcc_lo
	.loc	1 205 22                        ; attention_bwd.py:205:22
	global_store_b16 v[2:3], v101, off
	.loc	1 204 50                        ; attention_bwd.py:204:50
	v_add_co_u32 v2, vcc_lo, v162, v27
	s_delay_alu instid0(VALU_DEP_1) | instskip(SKIP_3) | instid1(VALU_DEP_2)
	v_add_co_ci_u32_e64 v3, null, v163, v28, vcc_lo
	.loc	1 205 22                        ; attention_bwd.py:205:22
	global_store_b16 v[2:3], v100, off
	.loc	1 171 69                        ; attention_bwd.py:171:69
	v_add_nc_u32_e32 v2, s61, v1
	v_add_nc_u32_e32 v1, s62, v1
	.loc	1 204 50                        ; attention_bwd.py:204:50
	v_ashrrev_i32_e32 v3, 31, v2
	s_delay_alu instid0(VALU_DEP_1) | instskip(NEXT) | instid1(VALU_DEP_1)
	v_lshlrev_b64 v[100:101], 1, v[2:3]
	v_add_co_u32 v2, vcc_lo, v162, v100
	s_delay_alu instid0(VALU_DEP_1) | instskip(SKIP_2) | instid1(VALU_DEP_1)
	v_add_co_ci_u32_e64 v3, null, v163, v101, vcc_lo
	.loc	1 205 22                        ; attention_bwd.py:205:22
	global_store_b16 v[2:3], v99, off
	.loc	1 204 50                        ; attention_bwd.py:204:50
	v_add_co_u32 v2, vcc_lo, v162, v29
	v_add_co_ci_u32_e64 v3, null, v163, v30, vcc_lo
	.loc	1 205 22                        ; attention_bwd.py:205:22
	global_store_b16 v[2:3], v98, off
	.loc	1 204 50                        ; attention_bwd.py:204:50
	v_ashrrev_i32_e32 v2, 31, v1
	s_delay_alu instid0(VALU_DEP_1) | instskip(NEXT) | instid1(VALU_DEP_1)
	v_lshlrev_b64 v[172:173], 1, v[1:2]
	v_add_co_u32 v1, vcc_lo, v162, v172
	s_delay_alu instid0(VALU_DEP_1) | instskip(SKIP_4) | instid1(VALU_DEP_1)
	v_add_co_ci_u32_e64 v2, null, v163, v173, vcc_lo
	.loc	1 205 22                        ; attention_bwd.py:205:22
	global_store_b16 v[1:2], v97, off
	.loc	1 171 58                        ; attention_bwd.py:171:58
	scratch_load_b32 v1, off, off offset:2560 ; 4-byte Folded Reload
	s_waitcnt vmcnt(0)
	v_or_b32_e32 v1, 62, v1
	.loc	1 171 69 is_stmt 0              ; attention_bwd.py:171:69
	v_mul_lo_u32 v1, s11, v1
	s_delay_alu instid0(VALU_DEP_1) | instskip(NEXT) | instid1(VALU_DEP_1)
	.loc	1 204 50 is_stmt 1              ; attention_bwd.py:204:50
	v_ashrrev_i32_e32 v2, 31, v1
	v_lshlrev_b64 v[97:98], 1, v[1:2]
	s_delay_alu instid0(VALU_DEP_1) | instskip(NEXT) | instid1(VALU_DEP_1)
	v_add_co_u32 v1, vcc_lo, v162, v97
	v_add_co_ci_u32_e64 v2, null, v163, v98, vcc_lo
	.loc	1 205 22                        ; attention_bwd.py:205:22
	global_store_b16 v[1:2], v96, off
	.loc	1 171 38                        ; attention_bwd.py:171:38
	v_mul_lo_u32 v1, s10, v250
	s_delay_alu instid0(VALU_DEP_1) | instskip(NEXT) | instid1(VALU_DEP_1)
	.loc	1 204 19                        ; attention_bwd.py:204:19
	v_ashrrev_i32_e32 v2, 31, v1
	v_lshlrev_b64 v[162:163], 1, v[1:2]
	s_delay_alu instid0(VALU_DEP_1) | instskip(NEXT) | instid1(VALU_DEP_1)
	v_add_co_u32 v3, vcc_lo, s4, v162
	v_add_co_ci_u32_e64 v4, null, s5, v163, vcc_lo
	s_delay_alu instid0(VALU_DEP_2) | instskip(NEXT) | instid1(VALU_DEP_1)
	.loc	1 204 50 is_stmt 0              ; attention_bwd.py:204:50
	v_add_co_u32 v1, vcc_lo, v3, v164
	v_add_co_ci_u32_e64 v2, null, v4, v165, vcc_lo
	.loc	1 205 22 is_stmt 1              ; attention_bwd.py:205:22
	global_store_b16 v[1:2], v95, off
	.loc	1 204 50                        ; attention_bwd.py:204:50
	v_add_co_u32 v1, vcc_lo, v3, v166
	s_delay_alu instid0(VALU_DEP_1) | instskip(SKIP_2) | instid1(VALU_DEP_1)
	v_add_co_ci_u32_e64 v2, null, v4, v167, vcc_lo
	.loc	1 205 22                        ; attention_bwd.py:205:22
	global_store_b16 v[1:2], v94, off
	.loc	1 204 50                        ; attention_bwd.py:204:50
	v_add_co_u32 v1, vcc_lo, v3, v121
	v_add_co_ci_u32_e64 v2, null, v4, v122, vcc_lo
	.loc	1 205 22                        ; attention_bwd.py:205:22
	global_store_b16 v[1:2], v93, off
	.loc	1 204 50                        ; attention_bwd.py:204:50
	v_add_co_u32 v1, vcc_lo, v3, v168
	s_delay_alu instid0(VALU_DEP_1) | instskip(SKIP_2) | instid1(VALU_DEP_1)
	v_add_co_ci_u32_e64 v2, null, v4, v169, vcc_lo
	.loc	1 205 22                        ; attention_bwd.py:205:22
	global_store_b16 v[1:2], v92, off
	.loc	1 204 50                        ; attention_bwd.py:204:50
	v_add_co_u32 v1, vcc_lo, v3, v123
	v_add_co_ci_u32_e64 v2, null, v4, v124, vcc_lo
	.loc	1 205 22                        ; attention_bwd.py:205:22
	;; [unrolled: 11-line block ×15, first 2 shown]
	global_store_b16 v[1:2], v65, off
	.loc	1 204 50                        ; attention_bwd.py:204:50
	v_add_co_u32 v1, vcc_lo, v3, v97
	s_delay_alu instid0(VALU_DEP_1) | instskip(SKIP_2) | instid1(VALU_DEP_1)
	v_add_co_ci_u32_e64 v2, null, v4, v98, vcc_lo
	.loc	1 205 22                        ; attention_bwd.py:205:22
	global_store_b16 v[1:2], v0, off
	.loc	1 209 19                        ; attention_bwd.py:209:19
	v_add_co_u32 v2, vcc_lo, s0, v174
	v_add_co_ci_u32_e64 v3, null, s3, v175, vcc_lo
	s_delay_alu instid0(VALU_DEP_2) | instskip(NEXT) | instid1(VALU_DEP_1)
	.loc	1 209 50 is_stmt 0              ; attention_bwd.py:209:50
	v_add_co_u32 v0, vcc_lo, v2, v164
	v_add_co_ci_u32_e64 v1, null, v3, v165, vcc_lo
	.loc	1 210 22 is_stmt 1              ; attention_bwd.py:210:22
	global_store_b16 v[0:1], v176, off
	.loc	1 209 50                        ; attention_bwd.py:209:50
	v_add_co_u32 v0, vcc_lo, v2, v166
	s_delay_alu instid0(VALU_DEP_1) | instskip(SKIP_2) | instid1(VALU_DEP_1)
	v_add_co_ci_u32_e64 v1, null, v3, v167, vcc_lo
	.loc	1 210 22                        ; attention_bwd.py:210:22
	global_store_b16 v[0:1], v132, off
	.loc	1 209 50                        ; attention_bwd.py:209:50
	v_add_co_u32 v0, vcc_lo, v2, v121
	v_add_co_ci_u32_e64 v1, null, v3, v122, vcc_lo
	.loc	1 210 22                        ; attention_bwd.py:210:22
	global_store_b16 v[0:1], v133, off
	.loc	1 209 50                        ; attention_bwd.py:209:50
	v_add_co_u32 v0, vcc_lo, v2, v168
	s_delay_alu instid0(VALU_DEP_1) | instskip(SKIP_2) | instid1(VALU_DEP_1)
	v_add_co_ci_u32_e64 v1, null, v3, v169, vcc_lo
	.loc	1 210 22                        ; attention_bwd.py:210:22
	global_store_b16 v[0:1], v134, off
	.loc	1 209 50                        ; attention_bwd.py:209:50
	v_add_co_u32 v0, vcc_lo, v2, v123
	v_add_co_ci_u32_e64 v1, null, v3, v124, vcc_lo
	scratch_load_b64 v[133:134], off, off offset:1964 ; 8-byte Folded Reload
	.loc	1 210 22                        ; attention_bwd.py:210:22
	global_store_b16 v[0:1], v135, off
	.loc	1 209 50                        ; attention_bwd.py:209:50
	v_add_co_u32 v0, vcc_lo, v2, v5
	s_delay_alu instid0(VALU_DEP_1) | instskip(SKIP_2) | instid1(VALU_DEP_1)
	v_add_co_ci_u32_e64 v1, null, v3, v6, vcc_lo
	.loc	1 210 22                        ; attention_bwd.py:210:22
	global_store_b16 v[0:1], v136, off
	.loc	1 209 50                        ; attention_bwd.py:209:50
	v_add_co_u32 v0, vcc_lo, v2, v125
	v_add_co_ci_u32_e64 v1, null, v3, v126, vcc_lo
	scratch_load_b64 v[135:136], off, off offset:1972 ; 8-byte Folded Reload
	;; [unrolled: 12-line block ×13, first 2 shown]
	.loc	1 210 22                        ; attention_bwd.py:210:22
	global_store_b16 v[0:1], v159, off
	.loc	1 209 50                        ; attention_bwd.py:209:50
	v_add_co_u32 v0, vcc_lo, v2, v29
	s_delay_alu instid0(VALU_DEP_1) | instskip(SKIP_2) | instid1(VALU_DEP_1)
	v_add_co_ci_u32_e64 v1, null, v3, v30, vcc_lo
	.loc	1 210 22                        ; attention_bwd.py:210:22
	global_store_b16 v[0:1], v160, off
	.loc	1 209 50                        ; attention_bwd.py:209:50
	v_add_co_u32 v0, vcc_lo, v2, v172
	v_add_co_ci_u32_e64 v1, null, v3, v173, vcc_lo
	.loc	1 210 22                        ; attention_bwd.py:210:22
	global_store_b16 v[0:1], v161, off
	.loc	1 209 50                        ; attention_bwd.py:209:50
	v_add_co_u32 v0, vcc_lo, v2, v97
	s_delay_alu instid0(VALU_DEP_1) | instskip(SKIP_1) | instid1(VALU_DEP_1)
	v_add_co_ci_u32_e64 v1, null, v3, v98, vcc_lo
	.loc	1 209 19 is_stmt 0              ; attention_bwd.py:209:19
	v_add_co_u32 v2, vcc_lo, s0, v162
	v_add_co_ci_u32_e64 v3, null, s3, v163, vcc_lo
	.loc	1 210 22 is_stmt 1              ; attention_bwd.py:210:22
	global_store_b16 v[0:1], v32, off
	.loc	1 209 50                        ; attention_bwd.py:209:50
	v_add_co_u32 v0, vcc_lo, v2, v164
	s_delay_alu instid0(VALU_DEP_1) | instskip(SKIP_3) | instid1(VALU_DEP_1)
	v_add_co_ci_u32_e64 v1, null, v3, v165, vcc_lo
	s_mov_b32 s3, s20
	.loc	1 210 22                        ; attention_bwd.py:210:22
	global_store_b16 v[0:1], v33, off
	.loc	1 209 50                        ; attention_bwd.py:209:50
	v_add_co_u32 v0, vcc_lo, v2, v166
	v_add_co_ci_u32_e64 v1, null, v3, v167, vcc_lo
	scratch_load_b64 v[32:33], off, off offset:1772 ; 8-byte Folded Reload
	.loc	1 210 22                        ; attention_bwd.py:210:22
	global_store_b16 v[0:1], v34, off
	.loc	1 209 50                        ; attention_bwd.py:209:50
	v_add_co_u32 v0, vcc_lo, v2, v121
	s_delay_alu instid0(VALU_DEP_1) | instskip(SKIP_2) | instid1(VALU_DEP_1)
	v_add_co_ci_u32_e64 v1, null, v3, v122, vcc_lo
	.loc	1 210 22                        ; attention_bwd.py:210:22
	global_store_b16 v[0:1], v35, off
	.loc	1 209 50                        ; attention_bwd.py:209:50
	v_add_co_u32 v0, vcc_lo, v2, v168
	v_add_co_ci_u32_e64 v1, null, v3, v169, vcc_lo
	scratch_load_b64 v[34:35], off, off offset:1780 ; 8-byte Folded Reload
	.loc	1 210 22                        ; attention_bwd.py:210:22
	global_store_b16 v[0:1], v36, off
	.loc	1 209 50                        ; attention_bwd.py:209:50
	v_add_co_u32 v0, vcc_lo, v2, v123
	s_delay_alu instid0(VALU_DEP_1) | instskip(SKIP_2) | instid1(VALU_DEP_1)
	v_add_co_ci_u32_e64 v1, null, v3, v124, vcc_lo
	.loc	1 210 22                        ; attention_bwd.py:210:22
	global_store_b16 v[0:1], v37, off
	.loc	1 209 50                        ; attention_bwd.py:209:50
	v_add_co_u32 v0, vcc_lo, v2, v5
	v_add_co_ci_u32_e64 v1, null, v3, v6, vcc_lo
	s_clause 0x1                            ; 16-byte Folded Reload
	scratch_load_b64 v[4:5], off, off offset:2252
	scratch_load_b64 v[36:37], off, off offset:1788
	.loc	1 210 22                        ; attention_bwd.py:210:22
	global_store_b16 v[0:1], v38, off
	.loc	1 209 50                        ; attention_bwd.py:209:50
	v_add_co_u32 v0, vcc_lo, v2, v125
	s_delay_alu instid0(VALU_DEP_1) | instskip(SKIP_2) | instid1(VALU_DEP_1)
	v_add_co_ci_u32_e64 v1, null, v3, v126, vcc_lo
	.loc	1 210 22                        ; attention_bwd.py:210:22
	global_store_b16 v[0:1], v39, off
	.loc	1 209 50                        ; attention_bwd.py:209:50
	v_add_co_u32 v0, vcc_lo, v2, v7
	v_add_co_ci_u32_e64 v1, null, v3, v8, vcc_lo
	s_clause 0x1                            ; 16-byte Folded Reload
	scratch_load_b64 v[6:7], off, off offset:2244
	scratch_load_b64 v[38:39], off, off offset:1796
	;; [unrolled: 14-line block ×4, first 2 shown]
	.loc	1 210 22                        ; attention_bwd.py:210:22
	global_store_b16 v[0:1], v44, off
	.loc	1 209 50                        ; attention_bwd.py:209:50
	v_add_co_u32 v0, vcc_lo, v2, v116
	s_delay_alu instid0(VALU_DEP_1) | instskip(SKIP_2) | instid1(VALU_DEP_1)
	v_add_co_ci_u32_e64 v1, null, v3, v117, vcc_lo
	.loc	1 210 22                        ; attention_bwd.py:210:22
	global_store_b16 v[0:1], v45, off
	.loc	1 209 50                        ; attention_bwd.py:209:50
	v_add_co_u32 v0, vcc_lo, v2, v13
	v_add_co_ci_u32_e64 v1, null, v3, v14, vcc_lo
	scratch_load_b64 v[12:13], off, off offset:2220 ; 8-byte Folded Reload
	.loc	1 210 22                        ; attention_bwd.py:210:22
	global_store_b16 v[0:1], v46, off
	.loc	1 209 50                        ; attention_bwd.py:209:50
	v_add_co_u32 v0, vcc_lo, v2, v114
	s_delay_alu instid0(VALU_DEP_1) | instskip(SKIP_2) | instid1(VALU_DEP_1)
	v_add_co_ci_u32_e64 v1, null, v3, v115, vcc_lo
	.loc	1 210 22                        ; attention_bwd.py:210:22
	global_store_b16 v[0:1], v47, off
	.loc	1 209 50                        ; attention_bwd.py:209:50
	v_add_co_u32 v0, vcc_lo, v2, v15
	v_add_co_ci_u32_e64 v1, null, v3, v16, vcc_lo
	s_clause 0x1                            ; 16-byte Folded Reload
	scratch_load_b64 v[14:15], off, off offset:2212
	scratch_load_b64 v[46:47], off, off offset:1940
	.loc	1 210 22                        ; attention_bwd.py:210:22
	global_store_b16 v[0:1], v48, off
	.loc	1 209 50                        ; attention_bwd.py:209:50
	v_add_co_u32 v0, vcc_lo, v2, v112
	s_delay_alu instid0(VALU_DEP_1) | instskip(SKIP_2) | instid1(VALU_DEP_1)
	v_add_co_ci_u32_e64 v1, null, v3, v113, vcc_lo
	.loc	1 210 22                        ; attention_bwd.py:210:22
	global_store_b16 v[0:1], v49, off
	.loc	1 209 50                        ; attention_bwd.py:209:50
	v_add_co_u32 v0, vcc_lo, v2, v17
	v_add_co_ci_u32_e64 v1, null, v3, v18, vcc_lo
	s_clause 0x2                            ; 24-byte Folded Reload
	scratch_load_b64 v[16:17], off, off offset:1932
	scratch_load_b64 v[44:45], off, off offset:1820
	;; [unrolled: 1-line block ×3, first 2 shown]
	.loc	1 210 22                        ; attention_bwd.py:210:22
	global_store_b16 v[0:1], v50, off
	.loc	1 209 50                        ; attention_bwd.py:209:50
	v_add_co_u32 v0, vcc_lo, v2, v110
	s_delay_alu instid0(VALU_DEP_1) | instskip(SKIP_2) | instid1(VALU_DEP_1)
	v_add_co_ci_u32_e64 v1, null, v3, v111, vcc_lo
	.loc	1 210 22                        ; attention_bwd.py:210:22
	global_store_b16 v[0:1], v51, off
	.loc	1 209 50                        ; attention_bwd.py:209:50
	v_add_co_u32 v0, vcc_lo, v2, v19
	v_add_co_ci_u32_e64 v1, null, v3, v20, vcc_lo
	scratch_load_b64 v[50:51], off, off offset:1956 ; 8-byte Folded Reload
	.loc	1 210 22                        ; attention_bwd.py:210:22
	global_store_b16 v[0:1], v52, off
	.loc	1 209 50                        ; attention_bwd.py:209:50
	v_add_co_u32 v0, vcc_lo, v2, v108
	s_delay_alu instid0(VALU_DEP_1) | instskip(SKIP_2) | instid1(VALU_DEP_1)
	v_add_co_ci_u32_e64 v1, null, v3, v109, vcc_lo
	.loc	1 210 22                        ; attention_bwd.py:210:22
	global_store_b16 v[0:1], v53, off
	.loc	1 209 50                        ; attention_bwd.py:209:50
	v_add_co_u32 v0, vcc_lo, v2, v21
	v_add_co_ci_u32_e64 v1, null, v3, v22, vcc_lo
	.loc	1 210 22                        ; attention_bwd.py:210:22
	global_store_b16 v[0:1], v54, off
	.loc	1 209 50                        ; attention_bwd.py:209:50
	v_add_co_u32 v0, vcc_lo, v2, v106
	s_delay_alu instid0(VALU_DEP_1) | instskip(SKIP_2) | instid1(VALU_DEP_1)
	v_add_co_ci_u32_e64 v1, null, v3, v107, vcc_lo
	.loc	1 210 22                        ; attention_bwd.py:210:22
	global_store_b16 v[0:1], v55, off
	.loc	1 209 50                        ; attention_bwd.py:209:50
	v_add_co_u32 v0, vcc_lo, v2, v23
	v_add_co_ci_u32_e64 v1, null, v3, v24, vcc_lo
	;; [unrolled: 11-line block ×3, first 2 shown]
	scratch_load_b64 v[24:25], off, off offset:1740 ; 8-byte Folded Reload
	.loc	1 210 22                        ; attention_bwd.py:210:22
	global_store_b16 v[0:1], v58, off
	.loc	1 209 50                        ; attention_bwd.py:209:50
	v_add_co_u32 v0, vcc_lo, v2, v102
	s_delay_alu instid0(VALU_DEP_1) | instskip(SKIP_2) | instid1(VALU_DEP_1)
	v_add_co_ci_u32_e64 v1, null, v3, v103, vcc_lo
	.loc	1 210 22                        ; attention_bwd.py:210:22
	global_store_b16 v[0:1], v59, off
	.loc	1 209 50                        ; attention_bwd.py:209:50
	v_add_co_u32 v0, vcc_lo, v2, v27
	v_add_co_ci_u32_e64 v1, null, v3, v28, vcc_lo
	.loc	1 210 22                        ; attention_bwd.py:210:22
	global_store_b16 v[0:1], v60, off
	.loc	1 209 50                        ; attention_bwd.py:209:50
	v_add_co_u32 v0, vcc_lo, v2, v100
	s_delay_alu instid0(VALU_DEP_1) | instskip(SKIP_2) | instid1(VALU_DEP_1)
	v_add_co_ci_u32_e64 v1, null, v3, v101, vcc_lo
	.loc	1 210 22                        ; attention_bwd.py:210:22
	global_store_b16 v[0:1], v61, off
	.loc	1 209 50                        ; attention_bwd.py:209:50
	v_add_co_u32 v0, vcc_lo, v2, v29
	v_add_co_ci_u32_e64 v1, null, v3, v30, vcc_lo
	scratch_load_b64 v[30:31], off, off offset:1764 ; 8-byte Folded Reload
	.loc	1 210 22                        ; attention_bwd.py:210:22
	global_store_b16 v[0:1], v62, off
	.loc	1 209 50                        ; attention_bwd.py:209:50
	v_add_co_u32 v0, vcc_lo, v2, v172
	s_delay_alu instid0(VALU_DEP_1) | instskip(SKIP_2) | instid1(VALU_DEP_1)
	v_add_co_ci_u32_e64 v1, null, v3, v173, vcc_lo
	.loc	1 210 22                        ; attention_bwd.py:210:22
	global_store_b16 v[0:1], v63, off
	.loc	1 209 50                        ; attention_bwd.py:209:50
	v_add_co_u32 v0, vcc_lo, v2, v97
	v_add_co_ci_u32_e64 v1, null, v3, v98, vcc_lo
	scratch_load_b64 v[2:3], off, off offset:2260 ; 8-byte Folded Reload
	.loc	1 210 22                        ; attention_bwd.py:210:22
	global_store_b16 v[0:1], v64, off
	scratch_load_b64 v[0:1], off, off offset:1828 ; 8-byte Folded Reload
	.loc	1 220 20                        ; attention_bwd.py:220:20
	s_waitcnt vmcnt(0)
	v_add_co_u32 v0, vcc_lo, s49, v0
	s_delay_alu instid0(VALU_DEP_1) | instskip(SKIP_1) | instid1(VALU_DEP_1)
	v_add_co_ci_u32_e64 v1, null, s50, v1, vcc_lo
	v_add_co_u32 v2, vcc_lo, s49, v2
	v_add_co_ci_u32_e64 v3, null, s50, v3, vcc_lo
	v_add_co_u32 v4, vcc_lo, s49, v4
	s_delay_alu instid0(VALU_DEP_1) | instskip(SKIP_1) | instid1(VALU_DEP_1)
	v_add_co_ci_u32_e64 v5, null, s50, v5, vcc_lo
	v_add_co_u32 v6, vcc_lo, s49, v6
	v_add_co_ci_u32_e64 v7, null, s50, v7, vcc_lo
	;; [unrolled: 5-line block ×4, first 2 shown]
	.loc	1 220 51 is_stmt 0              ; attention_bwd.py:220:51
	v_add_co_u32 v0, vcc_lo, v0, v127
	s_delay_alu instid0(VALU_DEP_1) | instskip(SKIP_4) | instid1(VALU_DEP_1)
	v_add_co_ci_u32_e64 v1, null, v1, v128, vcc_lo
	s_clause 0x1                            ; 16-byte Folded Spill
	scratch_store_b64 off, v[116:117], off offset:1596
	scratch_store_b64 off, v[0:1], off offset:260
	v_add_co_u32 v0, vcc_lo, v2, v127
	v_add_co_ci_u32_e64 v1, null, v3, v128, vcc_lo
	scratch_load_b64 v[2:3], off, off offset:1876 ; 8-byte Folded Reload
	s_clause 0x1                            ; 16-byte Folded Spill
	scratch_store_b64 off, v[123:124], off offset:1532
	scratch_store_b64 off, v[0:1], off offset:132
	v_add_co_u32 v0, vcc_lo, v4, v127
	s_delay_alu instid0(VALU_DEP_1) | instskip(SKIP_2) | instid1(VALU_DEP_1)
	v_add_co_ci_u32_e64 v1, null, v5, v128, vcc_lo
	scratch_load_b64 v[4:5], off, off offset:1884 ; 8-byte Folded Reload
	v_add_co_u32 v130, vcc_lo, v6, v127
	v_add_co_ci_u32_e64 v131, null, v7, v128, vcc_lo
	scratch_load_b64 v[6:7], off, off offset:1892 ; 8-byte Folded Reload
	s_clause 0x1                            ; 16-byte Folded Spill
	scratch_store_b64 off, v[164:165], off offset:1500
	scratch_store_b64 off, v[0:1], off offset:4
	v_add_co_u32 v0, vcc_lo, v8, v127
	s_delay_alu instid0(VALU_DEP_1)
	v_add_co_ci_u32_e64 v1, null, v9, v128, vcc_lo
	scratch_load_b64 v[8:9], off, off offset:1900 ; 8-byte Folded Reload
	s_clause 0x1                            ; 16-byte Folded Spill
	scratch_store_b64 off, v[108:109], off offset:2592
	scratch_store_b64 off, v[0:1], off offset:420
	v_add_co_u32 v0, vcc_lo, v10, v127
	s_delay_alu instid0(VALU_DEP_1)
	;; [unrolled: 7-line block ×4, first 2 shown]
	v_add_co_ci_u32_e64 v1, null, v15, v128, vcc_lo
	scratch_load_b64 v[14:15], off, off offset:1924 ; 8-byte Folded Reload
	s_clause 0x1                            ; 16-byte Folded Spill
	scratch_store_b64 off, v[166:167], off offset:1508
	scratch_store_b64 off, v[0:1], off offset:36
	.loc	1 220 20                        ; attention_bwd.py:220:20
	s_waitcnt vmcnt(6)
	v_add_co_u32 v0, vcc_lo, s49, v2
	s_delay_alu instid0(VALU_DEP_1) | instskip(NEXT) | instid1(VALU_DEP_2)
	v_add_co_ci_u32_e64 v1, null, s50, v3, vcc_lo
	.loc	1 220 51                        ; attention_bwd.py:220:51
	v_add_co_u32 v0, vcc_lo, v0, v127
	s_delay_alu instid0(VALU_DEP_1)
	v_add_co_ci_u32_e64 v1, null, v1, v128, vcc_lo
	s_clause 0x1                            ; 16-byte Folded Spill
	scratch_store_b64 off, v[121:122], off offset:1516
	scratch_store_b64 off, v[0:1], off offset:68
	.loc	1 220 20                        ; attention_bwd.py:220:20
	s_waitcnt vmcnt(5)
	v_add_co_u32 v0, vcc_lo, s49, v4
	s_delay_alu instid0(VALU_DEP_1) | instskip(NEXT) | instid1(VALU_DEP_2)
	v_add_co_ci_u32_e64 v1, null, s50, v5, vcc_lo
	.loc	1 220 51                        ; attention_bwd.py:220:51
	v_add_co_u32 v0, vcc_lo, v0, v127
	s_delay_alu instid0(VALU_DEP_1)
	v_add_co_ci_u32_e64 v1, null, v1, v128, vcc_lo
	;; [unrolled: 12-line block ×6, first 2 shown]
	s_clause 0x1                            ; 16-byte Folded Spill
	scratch_store_b64 off, v[110:111], off offset:2576
	scratch_store_b64 off, v[0:1], off offset:356
	.loc	1 220 20                        ; attention_bwd.py:220:20
	s_waitcnt vmcnt(0)
	v_add_co_u32 v0, vcc_lo, s49, v14
	s_delay_alu instid0(VALU_DEP_1) | instskip(NEXT) | instid1(VALU_DEP_2)
	v_add_co_ci_u32_e64 v1, null, s50, v15, vcc_lo
	.loc	1 220 51                        ; attention_bwd.py:220:51
	v_add_co_u32 v0, vcc_lo, v0, v127
	s_delay_alu instid0(VALU_DEP_1) | instskip(SKIP_4) | instid1(VALU_DEP_1)
	v_add_co_ci_u32_e64 v1, null, v1, v128, vcc_lo
	scratch_store_b64 off, v[19:20], off offset:2584 ; 8-byte Folded Spill
	scratch_load_b64 v[18:19], off, off offset:1716 ; 8-byte Folded Reload
	scratch_store_b64 off, v[0:1], off offset:388 ; 8-byte Folded Spill
	.loc	1 220 20                        ; attention_bwd.py:220:20
	v_add_co_u32 v0, vcc_lo, s49, v16
	v_add_co_ci_u32_e64 v1, null, s50, v17, vcc_lo
	s_delay_alu instid0(VALU_DEP_2) | instskip(NEXT) | instid1(VALU_DEP_1)
	.loc	1 220 51                        ; attention_bwd.py:220:51
	v_add_co_u32 v0, vcc_lo, v0, v127
	v_add_co_ci_u32_e64 v1, null, v1, v128, vcc_lo
	scratch_store_b64 off, v[21:22], off offset:2600 ; 8-byte Folded Spill
	s_clause 0x1                            ; 16-byte Folded Reload
	scratch_load_b64 v[20:21], off, off offset:1724
	scratch_load_b64 v[22:23], off, off offset:1732
	scratch_store_b64 off, v[0:1], off offset:452 ; 8-byte Folded Spill
	.loc	1 220 20                        ; attention_bwd.py:220:20
	s_waitcnt vmcnt(2)
	v_add_co_u32 v0, vcc_lo, s49, v18
	s_delay_alu instid0(VALU_DEP_1) | instskip(NEXT) | instid1(VALU_DEP_2)
	v_add_co_ci_u32_e64 v1, null, s50, v19, vcc_lo
	.loc	1 220 51                        ; attention_bwd.py:220:51
	v_add_co_u32 v0, vcc_lo, v0, v127
	s_delay_alu instid0(VALU_DEP_1)
	v_add_co_ci_u32_e64 v1, null, v1, v128, vcc_lo
	s_clause 0x1                            ; 16-byte Folded Spill
	scratch_store_b64 off, v[106:107], off offset:2608
	scratch_store_b64 off, v[0:1], off offset:484
	.loc	1 220 20                        ; attention_bwd.py:220:20
	s_waitcnt vmcnt(1)
	v_add_co_u32 v0, vcc_lo, s49, v20
	s_delay_alu instid0(VALU_DEP_1) | instskip(NEXT) | instid1(VALU_DEP_2)
	v_add_co_ci_u32_e64 v1, null, s50, v21, vcc_lo
	.loc	1 220 51                        ; attention_bwd.py:220:51
	v_add_co_u32 v0, vcc_lo, v0, v127
	s_delay_alu instid0(VALU_DEP_1)
	v_add_co_ci_u32_e64 v1, null, v1, v128, vcc_lo
	s_clause 0x1                            ; 16-byte Folded Spill
	scratch_store_b64 off, v[104:105], off offset:2624
	scratch_store_b64 off, v[0:1], off offset:516
	.loc	1 220 20                        ; attention_bwd.py:220:20
	s_waitcnt vmcnt(0)
	v_add_co_u32 v0, vcc_lo, s49, v22
	s_delay_alu instid0(VALU_DEP_1) | instskip(NEXT) | instid1(VALU_DEP_2)
	v_add_co_ci_u32_e64 v1, null, s50, v23, vcc_lo
	.loc	1 220 51                        ; attention_bwd.py:220:51
	v_add_co_u32 v0, vcc_lo, v0, v127
	s_delay_alu instid0(VALU_DEP_1) | instskip(SKIP_4) | instid1(VALU_DEP_1)
	v_add_co_ci_u32_e64 v1, null, v1, v128, vcc_lo
	s_clause 0x1                            ; 16-byte Folded Spill
	scratch_store_b64 off, v[102:103], off offset:2640
	scratch_store_b64 off, v[0:1], off offset:548
	.loc	1 220 20                        ; attention_bwd.py:220:20
	v_add_co_u32 v0, vcc_lo, s49, v24
	v_add_co_ci_u32_e64 v1, null, s50, v25, vcc_lo
	s_delay_alu instid0(VALU_DEP_2) | instskip(NEXT) | instid1(VALU_DEP_1)
	.loc	1 220 51                        ; attention_bwd.py:220:51
	v_add_co_u32 v0, vcc_lo, v0, v127
	v_add_co_ci_u32_e64 v1, null, v1, v128, vcc_lo
	scratch_store_b64 off, v[27:28], off offset:2648 ; 8-byte Folded Spill
	s_clause 0x1                            ; 16-byte Folded Reload
	scratch_load_b64 v[26:27], off, off offset:1748
	scratch_load_b64 v[28:29], off, off offset:1756
	scratch_store_b64 off, v[0:1], off offset:580 ; 8-byte Folded Spill
	.loc	1 220 20                        ; attention_bwd.py:220:20
	s_waitcnt vmcnt(1)
	v_add_co_u32 v0, vcc_lo, s49, v26
	s_delay_alu instid0(VALU_DEP_1) | instskip(NEXT) | instid1(VALU_DEP_2)
	v_add_co_ci_u32_e64 v1, null, s50, v27, vcc_lo
	.loc	1 220 51                        ; attention_bwd.py:220:51
	v_add_co_u32 v0, vcc_lo, v0, v127
	s_delay_alu instid0(VALU_DEP_1)
	v_add_co_ci_u32_e64 v1, null, v1, v128, vcc_lo
	s_clause 0x1                            ; 16-byte Folded Spill
	scratch_store_b64 off, v[100:101], off offset:2656
	scratch_store_b64 off, v[0:1], off offset:588
	.loc	1 220 20                        ; attention_bwd.py:220:20
	s_waitcnt vmcnt(0)
	v_add_co_u32 v0, vcc_lo, s49, v28
	s_delay_alu instid0(VALU_DEP_1) | instskip(NEXT) | instid1(VALU_DEP_2)
	v_add_co_ci_u32_e64 v1, null, s50, v29, vcc_lo
	.loc	1 220 51                        ; attention_bwd.py:220:51
	v_add_co_u32 v0, vcc_lo, v0, v127
	s_delay_alu instid0(VALU_DEP_1) | instskip(SKIP_4) | instid1(VALU_DEP_1)
	v_add_co_ci_u32_e64 v1, null, v1, v128, vcc_lo
	s_clause 0x1                            ; 16-byte Folded Spill
	scratch_store_b64 off, v[97:98], off offset:2672
	scratch_store_b64 off, v[0:1], off offset:620
	.loc	1 220 20                        ; attention_bwd.py:220:20
	v_add_co_u32 v0, vcc_lo, s49, v30
	v_add_co_ci_u32_e64 v1, null, s50, v31, vcc_lo
	s_delay_alu instid0(VALU_DEP_2) | instskip(NEXT) | instid1(VALU_DEP_1)
	.loc	1 220 51                        ; attention_bwd.py:220:51
	v_add_co_u32 v0, vcc_lo, v0, v127
	v_add_co_ci_u32_e64 v1, null, v1, v128, vcc_lo
	s_clause 0x1                            ; 16-byte Folded Spill
	scratch_store_b64 off, v[172:173], off offset:2680
	scratch_store_b64 off, v[0:1], off offset:652
	.loc	1 220 20                        ; attention_bwd.py:220:20
	v_add_co_u32 v0, vcc_lo, s49, v32
	s_delay_alu instid0(VALU_DEP_1) | instskip(NEXT) | instid1(VALU_DEP_2)
	v_add_co_ci_u32_e64 v1, null, s50, v33, vcc_lo
	.loc	1 220 51                        ; attention_bwd.py:220:51
	v_add_co_u32 v0, vcc_lo, v0, v127
	s_delay_alu instid0(VALU_DEP_1) | instskip(SKIP_4) | instid1(VALU_DEP_1)
	v_add_co_ci_u32_e64 v1, null, v1, v128, vcc_lo
	s_clause 0x1                            ; 16-byte Folded Spill
	scratch_store_b64 off, v[174:175], off offset:2688
	scratch_store_b64 off, v[0:1], off offset:684
	.loc	1 220 20                        ; attention_bwd.py:220:20
	v_add_co_u32 v0, vcc_lo, s49, v34
	v_add_co_ci_u32_e64 v1, null, s50, v35, vcc_lo
	s_delay_alu instid0(VALU_DEP_2) | instskip(NEXT) | instid1(VALU_DEP_1)
	.loc	1 220 51                        ; attention_bwd.py:220:51
	v_add_co_u32 v0, vcc_lo, v0, v127
	v_add_co_ci_u32_e64 v1, null, v1, v128, vcc_lo
	s_clause 0x1                            ; 16-byte Folded Spill
	scratch_store_b64 off, v[162:163], off offset:2696
	scratch_store_b64 off, v[0:1], off offset:716
	.loc	1 220 20                        ; attention_bwd.py:220:20
	v_add_co_u32 v0, vcc_lo, s49, v36
	s_delay_alu instid0(VALU_DEP_1) | instskip(NEXT) | instid1(VALU_DEP_2)
	v_add_co_ci_u32_e64 v1, null, s50, v37, vcc_lo
	.loc	1 220 51                        ; attention_bwd.py:220:51
	v_add_co_u32 v0, vcc_lo, v0, v127
	s_delay_alu instid0(VALU_DEP_1) | instskip(SKIP_2) | instid1(VALU_DEP_1)
	v_add_co_ci_u32_e64 v1, null, v1, v128, vcc_lo
	scratch_store_b64 off, v[0:1], off offset:748 ; 8-byte Folded Spill
	.loc	1 220 20                        ; attention_bwd.py:220:20
	v_add_co_u32 v0, vcc_lo, s49, v38
	v_add_co_ci_u32_e64 v1, null, s50, v39, vcc_lo
	s_delay_alu instid0(VALU_DEP_2) | instskip(NEXT) | instid1(VALU_DEP_1)
	.loc	1 220 51                        ; attention_bwd.py:220:51
	v_add_co_u32 v53, vcc_lo, v0, v127
	v_add_co_ci_u32_e64 v54, null, v1, v128, vcc_lo
	.loc	1 220 20                        ; attention_bwd.py:220:20
	v_add_co_u32 v0, vcc_lo, s49, v40
	s_delay_alu instid0(VALU_DEP_1) | instskip(NEXT) | instid1(VALU_DEP_2)
	v_add_co_ci_u32_e64 v1, null, s50, v41, vcc_lo
	.loc	1 220 51                        ; attention_bwd.py:220:51
	v_add_co_u32 v0, vcc_lo, v0, v127
	s_delay_alu instid0(VALU_DEP_1) | instskip(SKIP_2) | instid1(VALU_DEP_1)
	v_add_co_ci_u32_e64 v1, null, v1, v128, vcc_lo
	scratch_store_b64 off, v[0:1], off offset:780 ; 8-byte Folded Spill
	.loc	1 220 20                        ; attention_bwd.py:220:20
	v_add_co_u32 v0, vcc_lo, s49, v42
	v_add_co_ci_u32_e64 v1, null, s50, v43, vcc_lo
	s_delay_alu instid0(VALU_DEP_2) | instskip(NEXT) | instid1(VALU_DEP_1)
	.loc	1 220 51                        ; attention_bwd.py:220:51
	v_add_co_u32 v57, vcc_lo, v0, v127
	v_add_co_ci_u32_e64 v58, null, v1, v128, vcc_lo
	.loc	1 220 20                        ; attention_bwd.py:220:20
	v_add_co_u32 v0, vcc_lo, s49, v44
	s_delay_alu instid0(VALU_DEP_1) | instskip(NEXT) | instid1(VALU_DEP_2)
	v_add_co_ci_u32_e64 v1, null, s50, v45, vcc_lo
	.loc	1 220 51                        ; attention_bwd.py:220:51
	v_add_co_u32 v59, vcc_lo, v0, v127
	s_delay_alu instid0(VALU_DEP_1) | instskip(SKIP_1) | instid1(VALU_DEP_1)
	v_add_co_ci_u32_e64 v60, null, v1, v128, vcc_lo
	.loc	1 220 20                        ; attention_bwd.py:220:20
	v_add_co_u32 v0, vcc_lo, s49, v46
	v_add_co_ci_u32_e64 v1, null, s50, v47, vcc_lo
	s_delay_alu instid0(VALU_DEP_2) | instskip(NEXT) | instid1(VALU_DEP_1)
	.loc	1 220 51                        ; attention_bwd.py:220:51
	v_add_co_u32 v0, vcc_lo, v0, v127
	v_add_co_ci_u32_e64 v1, null, v1, v128, vcc_lo
	scratch_store_b64 off, v[0:1], off offset:788 ; 8-byte Folded Spill
	.loc	1 220 20                        ; attention_bwd.py:220:20
	v_add_co_u32 v0, vcc_lo, s49, v48
	s_delay_alu instid0(VALU_DEP_1) | instskip(NEXT) | instid1(VALU_DEP_2)
	v_add_co_ci_u32_e64 v1, null, s50, v49, vcc_lo
	.loc	1 220 51                        ; attention_bwd.py:220:51
	v_add_co_u32 v55, vcc_lo, v0, v127
	s_delay_alu instid0(VALU_DEP_1) | instskip(SKIP_1) | instid1(VALU_DEP_1)
	v_add_co_ci_u32_e64 v56, null, v1, v128, vcc_lo
	.loc	1 220 20                        ; attention_bwd.py:220:20
	v_add_co_u32 v0, vcc_lo, s49, v50
	v_add_co_ci_u32_e64 v1, null, s50, v51, vcc_lo
	s_delay_alu instid0(VALU_DEP_2) | instskip(NEXT) | instid1(VALU_DEP_1)
	.loc	1 220 51                        ; attention_bwd.py:220:51
	v_add_co_u32 v61, vcc_lo, v0, v127
	v_add_co_ci_u32_e64 v62, null, v1, v128, vcc_lo
	.loc	1 220 20                        ; attention_bwd.py:220:20
	v_add_co_u32 v0, vcc_lo, s49, v133
	s_delay_alu instid0(VALU_DEP_1) | instskip(NEXT) | instid1(VALU_DEP_2)
	v_add_co_ci_u32_e64 v1, null, s50, v134, vcc_lo
	.loc	1 220 51                        ; attention_bwd.py:220:51
	v_add_co_u32 v0, vcc_lo, v0, v127
	s_delay_alu instid0(VALU_DEP_1) | instskip(SKIP_2) | instid1(VALU_DEP_1)
	v_add_co_ci_u32_e64 v1, null, v1, v128, vcc_lo
	scratch_store_b64 off, v[0:1], off offset:796 ; 8-byte Folded Spill
	.loc	1 220 20                        ; attention_bwd.py:220:20
	v_add_co_u32 v0, vcc_lo, s49, v135
	v_add_co_ci_u32_e64 v1, null, s50, v136, vcc_lo
	s_delay_alu instid0(VALU_DEP_2) | instskip(NEXT) | instid1(VALU_DEP_1)
	.loc	1 220 51                        ; attention_bwd.py:220:51
	v_add_co_u32 v64, vcc_lo, v0, v127
	v_add_co_ci_u32_e64 v65, null, v1, v128, vcc_lo
	.loc	1 220 20                        ; attention_bwd.py:220:20
	v_add_co_u32 v0, vcc_lo, s49, v137
	s_delay_alu instid0(VALU_DEP_1) | instskip(NEXT) | instid1(VALU_DEP_2)
	v_add_co_ci_u32_e64 v1, null, s50, v138, vcc_lo
	.loc	1 220 51                        ; attention_bwd.py:220:51
	v_add_co_u32 v67, vcc_lo, v0, v127
	s_delay_alu instid0(VALU_DEP_1) | instskip(SKIP_1) | instid1(VALU_DEP_1)
	v_add_co_ci_u32_e64 v68, null, v1, v128, vcc_lo
	.loc	1 220 20                        ; attention_bwd.py:220:20
	v_add_co_u32 v0, vcc_lo, s49, v139
	v_add_co_ci_u32_e64 v1, null, s50, v140, vcc_lo
	s_delay_alu instid0(VALU_DEP_2) | instskip(NEXT) | instid1(VALU_DEP_1)
	.loc	1 220 51                        ; attention_bwd.py:220:51
	v_add_co_u32 v73, vcc_lo, v0, v127
	v_add_co_ci_u32_e64 v74, null, v1, v128, vcc_lo
	.loc	1 220 20                        ; attention_bwd.py:220:20
	v_add_co_u32 v0, vcc_lo, s49, v141
	s_delay_alu instid0(VALU_DEP_1) | instskip(NEXT) | instid1(VALU_DEP_2)
	v_add_co_ci_u32_e64 v1, null, s50, v142, vcc_lo
	.loc	1 220 51                        ; attention_bwd.py:220:51
	v_add_co_u32 v75, vcc_lo, v0, v127
	s_delay_alu instid0(VALU_DEP_1) | instskip(SKIP_1) | instid1(VALU_DEP_1)
	v_add_co_ci_u32_e64 v76, null, v1, v128, vcc_lo
	;; [unrolled: 15-line block ×15, first 2 shown]
	.loc	1 222 22 is_stmt 1              ; attention_bwd.py:222:22
	v_add_co_u32 v0, vcc_lo, s47, v2
	v_add_co_ci_u32_e64 v1, null, s48, v3, vcc_lo
	v_add_co_u32 v2, vcc_lo, s47, v4
	s_delay_alu instid0(VALU_DEP_1) | instskip(SKIP_1) | instid1(VALU_DEP_1)
	v_add_co_ci_u32_e64 v3, null, s48, v5, vcc_lo
	v_add_co_u32 v4, vcc_lo, s47, v6
	v_add_co_ci_u32_e64 v5, null, s48, v7, vcc_lo
	v_add_co_u32 v6, vcc_lo, s47, v8
	s_delay_alu instid0(VALU_DEP_1) | instskip(SKIP_1) | instid1(VALU_DEP_1)
	v_add_co_ci_u32_e64 v7, null, s48, v9, vcc_lo
	;; [unrolled: 5-line block ×28, first 2 shown]
	.loc	1 222 53 is_stmt 0              ; attention_bwd.py:222:53
	v_add_co_u32 v245, vcc_lo, v0, v127
	v_add_co_ci_u32_e64 v246, null, v1, v128, vcc_lo
	v_add_co_u32 v51, vcc_lo, v2, v127
	s_delay_alu instid0(VALU_DEP_1) | instskip(SKIP_2) | instid1(VALU_DEP_1)
	v_add_co_ci_u32_e64 v52, null, v3, v128, vcc_lo
	scratch_load_b64 v[2:3], off, off offset:2540 ; 8-byte Folded Reload
	v_add_co_u32 v133, vcc_lo, v4, v127
	v_add_co_ci_u32_e64 v134, null, v5, v128, vcc_lo
	v_add_co_u32 v135, vcc_lo, v6, v127
	s_delay_alu instid0(VALU_DEP_1) | instskip(SKIP_1) | instid1(VALU_DEP_1)
	v_add_co_ci_u32_e64 v136, null, v7, v128, vcc_lo
	v_add_co_u32 v137, vcc_lo, v8, v127
	v_add_co_ci_u32_e64 v138, null, v9, v128, vcc_lo
	v_add_co_u32 v139, vcc_lo, v10, v127
	s_delay_alu instid0(VALU_DEP_1) | instskip(SKIP_1) | instid1(VALU_DEP_1)
	v_add_co_ci_u32_e64 v140, null, v11, v128, vcc_lo
	;; [unrolled: 5-line block ×26, first 2 shown]
	v_add_co_u32 v237, vcc_lo, v237, v127
	v_add_co_ci_u32_e64 v238, null, v238, v128, vcc_lo
	v_add_co_u32 v127, vcc_lo, v241, v127
	s_delay_alu instid0(VALU_DEP_1) | instskip(SKIP_2) | instid1(VALU_DEP_1)
	v_add_co_ci_u32_e64 v128, null, v242, v128, vcc_lo
.Ltmp106:
	.loc	1 93 18 is_stmt 1               ; attention_bwd.py:93:18 @[ attention_bwd.py:240:70 ]
	s_waitcnt vmcnt(0)
	v_add_co_u32 v0, vcc_lo, s40, v2
	v_add_co_ci_u32_e64 v1, null, s42, v3, vcc_lo
	.loc	1 94 18                         ; attention_bwd.py:94:18 @[ attention_bwd.py:240:70 ]
	v_add_co_u32 v4, vcc_lo, s15, v2
	s_delay_alu instid0(VALU_DEP_1) | instskip(SKIP_3) | instid1(VALU_DEP_1)
	v_add_co_ci_u32_e64 v5, null, s33, v3, vcc_lo
	scratch_load_b64 v[2:3], off, off offset:1848 ; 8-byte Folded Reload
	.loc	1 93 49                         ; attention_bwd.py:93:49 @[ attention_bwd.py:240:70 ]
	s_waitcnt vmcnt(0)
	v_add_co_u32 v248, vcc_lo, v0, v2
	v_add_co_ci_u32_e64 v249, null, v1, v3, vcc_lo
	.loc	1 94 49                         ; attention_bwd.py:94:49 @[ attention_bwd.py:240:70 ]
	v_add_co_u32 v243, vcc_lo, v4, v2
	s_delay_alu instid0(VALU_DEP_1) | instskip(SKIP_3) | instid1(VALU_DEP_1)
	v_add_co_ci_u32_e64 v244, null, v5, v3, vcc_lo
	scratch_load_b64 v[2:3], off, off offset:1856 ; 8-byte Folded Reload
	.loc	1 93 49                         ; attention_bwd.py:93:49 @[ attention_bwd.py:240:70 ]
	;; [unrolled: 9-line block ×7, first 2 shown]
	s_waitcnt vmcnt(0)
	v_add_co_u32 v19, vcc_lo, v0, v2
	v_add_co_ci_u32_e64 v20, null, v1, v3, vcc_lo
	.loc	1 94 49                         ; attention_bwd.py:94:49 @[ attention_bwd.py:240:70 ]
	v_add_co_u32 v31, vcc_lo, v4, v2
	s_delay_alu instid0(VALU_DEP_1)
	v_add_co_ci_u32_e64 v32, null, v5, v3, vcc_lo
	scratch_load_b64 v[2:3], off, off offset:2404 ; 8-byte Folded Reload
	.loc	1 93 49                         ; attention_bwd.py:93:49 @[ attention_bwd.py:240:70 ]
	s_waitcnt vmcnt(0)
	v_add_co_u32 v15, vcc_lo, v0, v2
.Ltmp107:
	.loc	1 165 23                        ; attention_bwd.py:165:23
	scratch_load_b32 v0, off, off offset:1616 ; 4-byte Folded Reload
.Ltmp108:
	.loc	1 93 49                         ; attention_bwd.py:93:49 @[ attention_bwd.py:240:70 ]
	v_add_co_ci_u32_e64 v16, null, v1, v3, vcc_lo
	.loc	1 94 49                         ; attention_bwd.py:94:49 @[ attention_bwd.py:240:70 ]
	v_add_co_u32 v17, vcc_lo, v4, v2
	s_delay_alu instid0(VALU_DEP_1)
	v_add_co_ci_u32_e64 v18, null, v5, v3, vcc_lo
.Ltmp109:
	.loc	1 165 23                        ; attention_bwd.py:165:23
	s_waitcnt vmcnt(0)
	v_or_b32_e32 v252, s14, v0
	.loc	1 220 16                        ; attention_bwd.py:220:16
	scratch_load_b64 v[0:1], off, off offset:260 ; 8-byte Folded Reload
	s_waitcnt vmcnt(0)
	global_load_u16 v30, v[0:1], off
	scratch_load_b64 v[0:1], off, off offset:420 ; 8-byte Folded Reload
	s_waitcnt vmcnt(0)
	global_load_u16 v132, v[0:1], off
	;; [unrolled: 3-line block ×6, first 2 shown]
	scratch_load_b64 v[0:1], off, off offset:36 ; 8-byte Folded Reload
	s_waitcnt vmcnt(0)
	s_clause 0x1
	global_load_u16 v10, v[0:1], off
	global_load_u16 v8, v[130:131], off
	scratch_load_b64 v[0:1], off, off offset:68 ; 8-byte Folded Reload
	s_waitcnt vmcnt(0)
	global_load_u16 v29, v[0:1], off
	scratch_load_b64 v[0:1], off, off offset:324 ; 8-byte Folded Reload
	s_waitcnt vmcnt(0)
	;; [unrolled: 3-line block ×17, first 2 shown]
	s_clause 0x1
	global_load_u16 v21, v[130:131], off
	global_load_u16 v57, v[57:58], off
	scratch_load_b64 v[130:131], off, off offset:748 ; 8-byte Folded Reload
	s_waitcnt vmcnt(0)
	s_clause 0x2
	global_load_u16 v58, v[130:131], off
	global_load_u16 v59, v[59:60], off
	;; [unrolled: 1-line block ×3, first 2 shown]
	scratch_load_b64 v[130:131], off, off offset:788 ; 8-byte Folded Reload
	s_waitcnt vmcnt(0)
	s_clause 0x1
	global_load_u16 v54, v[130:131], off
	global_load_u16 v60, v[55:56], off
	scratch_load_b64 v[55:56], off, off offset:780 ; 8-byte Folded Reload
	s_waitcnt vmcnt(0)
	s_clause 0x2
	global_load_u16 v55, v[55:56], off
	global_load_u16 v56, v[61:62], off
	;; [unrolled: 1-line block ×3, first 2 shown]
	scratch_load_b64 v[62:63], off, off offset:796 ; 8-byte Folded Reload
	s_waitcnt vmcnt(0)
	s_clause 0x1d
	global_load_u16 v62, v[62:63], off
	global_load_u16 v63, v[75:76], off
	;; [unrolled: 1-line block ×30, first 2 shown]
	.loc	1 224 20                        ; attention_bwd.py:224:20
	v_ashrrev_i32_e32 v253, 31, v252
	s_delay_alu instid0(VALU_DEP_1) | instskip(NEXT) | instid1(VALU_DEP_1)
	v_lshlrev_b64 v[252:253], 2, v[252:253]
	v_add_co_u32 v13, vcc_lo, s45, v252
	s_delay_alu instid0(VALU_DEP_1) | instskip(SKIP_1) | instid1(VALU_DEP_1)
	v_add_co_ci_u32_e64 v14, null, s46, v253, vcc_lo
.Ltmp110:
	.loc	1 96 21                         ; attention_bwd.py:96:21 @[ attention_bwd.py:240:70 ]
	v_add_co_u32 v252, vcc_lo, s43, v252
	v_add_co_ci_u32_e64 v253, null, s44, v253, vcc_lo
.Ltmp111:
	.loc	1 220 16                        ; attention_bwd.py:220:16
	s_waitcnt vmcnt(0)
	s_waitcnt_vscnt null, 0x0
	s_barrier
	buffer_gl0_inv
	s_clause 0x3                            ; 16-byte Folded Reload
	scratch_load_b32 v92, off, off offset:2388
	scratch_load_b32 v93, off, off offset:2392
	;; [unrolled: 1-line block ×4, first 2 shown]
	s_waitcnt vmcnt(3)
	ds_store_b16 v92, v30
	ds_store_b16 v92, v132 offset:1024
	ds_store_b16 v92, v29 offset:2048
	ds_store_b16 v92, v1 offset:3072
	ds_store_b16 v92, v25 offset:4096
	ds_store_b16 v92, v0 offset:5120
	ds_store_b16 v92, v21 offset:6144
	ds_store_b16 v92, v57 offset:7168
	ds_store_b16 v92, v56 offset:8192
	ds_store_b16 v92, v61 offset:9216
	ds_store_b16 v92, v68 offset:10240
	ds_store_b16 v92, v69 offset:11264
	ds_store_b16 v92, v76 offset:12288
	ds_store_b16 v92, v77 offset:13312
	ds_store_b16 v92, v84 offset:14336
	ds_store_b16 v92, v85 offset:15360
	s_waitcnt vmcnt(2)
	ds_store_b16 v93, v247 offset:256
	ds_store_b16 v93, v12 offset:1280
	ds_store_b16 v93, v28 offset:2304
	ds_store_b16 v93, v3 offset:3328
	ds_store_b16 v93, v24 offset:4352
	ds_store_b16 v93, v2 offset:5376
	ds_store_b16 v93, v58 offset:6400
	ds_store_b16 v93, v59 offset:7424
	ds_store_b16 v93, v62 offset:8448
	ds_store_b16 v93, v63 offset:9472
	ds_store_b16 v93, v70 offset:10496
	ds_store_b16 v93, v71 offset:11520
	ds_store_b16 v93, v78 offset:12544
	ds_store_b16 v93, v79 offset:13568
	ds_store_b16 v93, v86 offset:14592
	ds_store_b16 v93, v87 offset:15616
	s_waitcnt vmcnt(1)
	ds_store_b16 v94, v11 offset:512
	;; [unrolled: 17-line block ×3, first 2 shown]
	ds_store_b16 v95, v10 offset:1792
	ds_store_b16 v95, v7 offset:2816
	;; [unrolled: 1-line block ×15, first 2 shown]
	s_waitcnt lgkmcnt(0)
	s_barrier
	buffer_gl0_inv
	.loc	1 222 17                        ; attention_bwd.py:222:17
	s_clause 0x7                            ; 36-byte Folded Reload
	scratch_load_b64 v[0:1], off, off offset:2364
	scratch_load_b32 v96, off, off offset:2436
	scratch_load_b32 v100, off, off offset:2472
	;; [unrolled: 1-line block ×7, first 2 shown]
	s_waitcnt vmcnt(7)
	global_load_u16 v0, v[0:1], off
	scratch_load_b64 v[1:2], off, off offset:2380 ; 8-byte Folded Reload
	s_waitcnt vmcnt(0)
	global_load_u16 v1, v[1:2], off
	scratch_load_b64 v[2:3], off, off offset:2348 ; 8-byte Folded Reload
	;; [unrolled: 3-line block ×7, first 2 shown]
	s_waitcnt vmcnt(0)
	s_clause 0x1f
	global_load_u16 v7, v[7:8], off
	global_load_u16 v8, v[245:246], off
	;; [unrolled: 1-line block ×32, first 2 shown]
	s_clause 0x18
	global_load_u16 v65, v[183:184], off
	global_load_u16 v66, v[193:194], off
	;; [unrolled: 1-line block ×25, first 2 shown]
	scratch_load_b32 v101, off, off offset:2500 ; 4-byte Folded Reload
	.loc	1 220 16                        ; attention_bwd.py:220:16
	ds_load_b128 v[144:147], v96
	ds_load_b128 v[102:105], v96 offset:8192
	s_waitcnt vmcnt(0)
	ds_load_b128 v[106:109], v101 offset:8192
	s_waitcnt lgkmcnt(1)
	scratch_store_b128 off, v[102:105], off offset:36 ; 16-byte Folded Spill
	s_waitcnt lgkmcnt(0)
	scratch_store_b128 off, v[106:109], off offset:52 ; 16-byte Folded Spill
	ds_load_b128 v[106:109], v100
	ds_load_b128 v[102:105], v99
	s_waitcnt lgkmcnt(0)
	s_clause 0x1                            ; 32-byte Folded Spill
	scratch_store_b128 off, v[102:105], off offset:4
	scratch_store_b128 off, v[106:109], off offset:20
	ds_load_b128 v[148:151], v101
	ds_load_b128 v[106:109], v98
	;; [unrolled: 1-line block ×4, first 2 shown]
	s_waitcnt lgkmcnt(1)
	s_clause 0x1                            ; 32-byte Folded Spill
	scratch_store_b128 off, v[102:105], off offset:228
	scratch_store_b128 off, v[106:109], off offset:244
	ds_load_b128 v[112:115], v99 offset:8192
	ds_load_b128 v[116:119], v100 offset:8192
	;; [unrolled: 1-line block ×4, first 2 shown]
	ds_load_b128 v[136:139], v90
	ds_load_b128 v[152:155], v90 offset:8192
	ds_load_b128 v[156:159], v91 offset:8192
	s_waitcnt lgkmcnt(4)
	scratch_store_b128 off, v[102:105], off offset:196 ; 16-byte Folded Spill
	s_waitcnt lgkmcnt(3)
	scratch_store_b128 off, v[106:109], off offset:212 ; 16-byte Folded Spill
	.loc	1 222 17                        ; attention_bwd.py:222:17
	s_waitcnt lgkmcnt(0)
	s_waitcnt_vscnt null, 0x0
	s_barrier
	buffer_gl0_inv
	ds_store_b16 v92, v0
	ds_store_b16 v92, v1 offset:1024
	ds_store_b16 v92, v8 offset:2048
	;; [unrolled: 1-line block ×63, first 2 shown]
	s_waitcnt lgkmcnt(0)
	s_barrier
	buffer_gl0_inv
	ds_load_b128 v[232:235], v101
	ds_load_b128 v[228:231], v96
	ds_load_b128 v[66:69], v96 offset:8192
	ds_load_b128 v[70:73], v101 offset:8192
	ds_load_b128 v[180:183], v100
	ds_load_b128 v[176:179], v99
	ds_load_b128 v[168:171], v99 offset:8192
	ds_load_b128 v[172:175], v100 offset:8192
	ds_load_b128 v[5:8], v98
	ds_load_b128 v[1:4], v97
	s_waitcnt lgkmcnt(0)
	s_clause 0x1                            ; 32-byte Folded Spill
	scratch_store_b128 off, v[1:4], off offset:68
	scratch_store_b128 off, v[5:8], off offset:84
	ds_load_b128 v[1:4], v97 offset:8192
	ds_load_b128 v[5:8], v98 offset:8192
	s_waitcnt lgkmcnt(1)
	scratch_store_b128 off, v[1:4], off offset:292 ; 16-byte Folded Spill
	s_waitcnt lgkmcnt(0)
	scratch_store_b128 off, v[5:8], off offset:308 ; 16-byte Folded Spill
	ds_load_b128 v[5:8], v91
	ds_load_b128 v[1:4], v90
	s_waitcnt lgkmcnt(0)
	s_clause 0x1                            ; 32-byte Folded Spill
	scratch_store_b128 off, v[1:4], off offset:260
	scratch_store_b128 off, v[5:8], off offset:276
.Ltmp112:
	.loc	1 105 30                        ; attention_bwd.py:105:30 @[ attention_bwd.py:240:70 ]
	s_clause 0x1                            ; 8-byte Folded Reload
	scratch_load_b32 v1, off, off offset:2552
	scratch_load_b32 v2, off, off offset:1836
	global_load_b32 v0, v[13:14], off
.Ltmp113:
	.loc	1 222 17                        ; attention_bwd.py:222:17
	ds_load_b128 v[160:163], v90 offset:8192
	ds_load_b128 v[164:167], v91 offset:8192
.Ltmp114:
	.loc	1 105 30                        ; attention_bwd.py:105:30 @[ attention_bwd.py:240:70 ]
	s_waitcnt vmcnt(2)
	v_add_nc_u32_e32 v1, v240, v1
	s_waitcnt vmcnt(1)
	s_delay_alu instid0(VALU_DEP_1)
	v_lshl_add_u32 v1, v2, 1, v1
	scratch_load_b32 v2, off, off offset:2548 ; 4-byte Folded Reload
	s_waitcnt vmcnt(0)
	v_add_nc_u32_e32 v2, v255, v2
	s_waitcnt lgkmcnt(0)
	s_waitcnt_vscnt null, 0x0
	s_barrier
	buffer_gl0_inv
	ds_store_b32 v2, v0
	s_waitcnt lgkmcnt(0)
	s_barrier
	buffer_gl0_inv
	.loc	1 113 23                        ; attention_bwd.py:113:23 @[ attention_bwd.py:240:70 ]
	global_load_b32 v0, v[252:253], off
	.loc	1 105 30                        ; attention_bwd.py:105:30 @[ attention_bwd.py:240:70 ]
	ds_load_2addr_stride64_b32 v[252:253], v1 offset1:1
	.loc	1 113 23                        ; attention_bwd.py:113:23 @[ attention_bwd.py:240:70 ]
	s_waitcnt vmcnt(0) lgkmcnt(0)
	s_barrier
	buffer_gl0_inv
	ds_store_b32 v2, v0
	s_waitcnt lgkmcnt(0)
	s_barrier
	buffer_gl0_inv
	.loc	1 102 21                        ; attention_bwd.py:102:21 @[ attention_bwd.py:240:70 ]
	s_clause 0x7
	global_load_u16 v0, v[248:249], off
	global_load_u16 v2, v[185:186], off
	;; [unrolled: 1-line block ×8, first 2 shown]
	.loc	1 103 21                        ; attention_bwd.py:103:21 @[ attention_bwd.py:240:70 ]
	s_clause 0x7
	global_load_u16 v9, v[243:244], off
	global_load_u16 v10, v[241:242], off
	;; [unrolled: 1-line block ×8, first 2 shown]
	.loc	1 113 23                        ; attention_bwd.py:113:23 @[ attention_bwd.py:240:70 ]
	ds_load_2addr_stride64_b32 v[130:131], v1 offset1:1
	.loc	1 102 21                        ; attention_bwd.py:102:21 @[ attention_bwd.py:240:70 ]
	s_waitcnt vmcnt(0) lgkmcnt(0)
	s_barrier
	buffer_gl0_inv
	ds_store_b16 v255, v0
	ds_store_b16 v255, v2 offset:256
	ds_store_b16 v255, v3 offset:512
	;; [unrolled: 1-line block ×7, first 2 shown]
	.loc	1 103 21                        ; attention_bwd.py:103:21 @[ attention_bwd.py:240:70 ]
	ds_store_b16 v255, v9 offset:2048
	ds_store_b16 v255, v10 offset:2304
	ds_store_b16 v255, v11 offset:2560
	ds_store_b16 v255, v12 offset:2816
	ds_store_b16 v255, v13 offset:3072
	ds_store_b16 v255, v14 offset:3328
	ds_store_b16 v255, v15 offset:3584
	ds_store_b16 v255, v16 offset:3840
	s_clause 0x2                            ; 16-byte Folded Reload
	scratch_load_b32 v0, off, off offset:2452
	scratch_load_b64 v[120:121], off, off offset:1636
	scratch_load_b32 v126, off, off offset:1612
	v_mov_b32_e32 v8, 0
	s_clause 0x5                            ; 96-byte Folded Spill
	scratch_store_b128 off, v[66:69], off offset:132
	scratch_store_b128 off, v[70:73], off offset:148
	;; [unrolled: 1-line block ×6, first 2 shown]
	v_mov_b32_e32 v9, v8
	v_mov_b32_e32 v10, v8
	;; [unrolled: 1-line block ×62, first 2 shown]
	.loc	1 101 25                        ; attention_bwd.py:101:25 @[ attention_bwd.py:240:70 ]
	s_waitcnt vmcnt(2)
	v_add_co_u32 v80, vcc_lo, s38, v0
	v_add_co_u32 v81, s0, s34, v0
	scratch_load_b32 v0, off, off offset:2448 ; 4-byte Folded Reload
	s_waitcnt vmcnt(0)
	v_add_co_ci_u32_e64 v82, null, s35, v0, s0
	v_add_co_ci_u32_e64 v83, null, s39, v0, vcc_lo
	scratch_load_b32 v0, off, off offset:2460 ; 4-byte Folded Reload
	s_waitcnt vmcnt(0)
	v_add_co_u32 v84, vcc_lo, s38, v0
	v_add_co_u32 v85, s0, s34, v0
	scratch_load_b32 v0, off, off offset:2456 ; 4-byte Folded Reload
	s_waitcnt vmcnt(0)
	v_add_co_ci_u32_e64 v86, null, s35, v0, s0
	v_add_co_ci_u32_e64 v87, null, s39, v0, vcc_lo
	scratch_load_b32 v0, off, off offset:2476 ; 4-byte Folded Reload
	;; [unrolled: 8-line block ×7, first 2 shown]
	s_waitcnt vmcnt(0)
	v_add_co_u32 v108, vcc_lo, s38, v0
	v_add_co_u32 v109, s0, s34, v0
	scratch_load_b32 v0, off, off offset:2516 ; 4-byte Folded Reload
	s_waitcnt vmcnt(0)
	v_add_co_ci_u32_e64 v110, null, s35, v0, s0
	v_add_co_ci_u32_e64 v111, null, s39, v0, vcc_lo
	v_mov_b32_e32 v0, v8
.LBB0_143:                              ; =>This Inner Loop Header: Depth=1
	.loc	1 120 19                        ; attention_bwd.py:120:19 @[ attention_bwd.py:240:70 ]
	v_add_co_u32 v64, vcc_lo, v108, s12
	s_delay_alu instid0(VALU_DEP_1) | instskip(SKIP_4) | instid1(VALU_DEP_1)
	v_add_co_ci_u32_e64 v65, null, s13, v111, vcc_lo
	.loc	1 104 23                        ; attention_bwd.py:104:23 @[ attention_bwd.py:240:70 ]
	v_dual_mov_b32 v211, s27 :: v_dual_mov_b32 v210, s26
	v_dual_mov_b32 v209, s25 :: v_dual_mov_b32 v208, s24
	.loc	1 102 21                        ; attention_bwd.py:102:21 @[ attention_bwd.py:240:70 ]
	global_load_u16 v187, v[64:65], off
	.loc	1 120 19                        ; attention_bwd.py:120:19 @[ attention_bwd.py:240:70 ]
	v_add_co_u32 v64, vcc_lo, v104, s12
	v_add_co_ci_u32_e64 v65, null, s13, v107, vcc_lo
	.loc	1 104 23                        ; attention_bwd.py:104:23 @[ attention_bwd.py:240:70 ]
	v_dual_mov_b32 v207, s23 :: v_dual_mov_b32 v206, s22
	v_dual_mov_b32 v205, s21 :: v_dual_mov_b32 v204, s20
	.loc	1 102 21                        ; attention_bwd.py:102:21 @[ attention_bwd.py:240:70 ]
	global_load_u16 v128, v[64:65], off
	.loc	1 120 19                        ; attention_bwd.py:120:19 @[ attention_bwd.py:240:70 ]
	v_add_co_u32 v64, vcc_lo, v100, s12
	s_delay_alu instid0(VALU_DEP_1) | instskip(SKIP_2) | instid1(VALU_DEP_1)
	v_add_co_ci_u32_e64 v65, null, s13, v103, vcc_lo
	.loc	1 102 21                        ; attention_bwd.py:102:21 @[ attention_bwd.py:240:70 ]
	global_load_u16 v132, v[64:65], off
	.loc	1 120 19                        ; attention_bwd.py:120:19 @[ attention_bwd.py:240:70 ]
	v_add_co_u32 v64, vcc_lo, v96, s12
	v_add_co_ci_u32_e64 v65, null, s13, v99, vcc_lo
	.loc	1 102 21                        ; attention_bwd.py:102:21 @[ attention_bwd.py:240:70 ]
	global_load_u16 v133, v[64:65], off
	.loc	1 120 19                        ; attention_bwd.py:120:19 @[ attention_bwd.py:240:70 ]
	v_add_co_u32 v64, vcc_lo, v92, s12
	s_delay_alu instid0(VALU_DEP_1) | instskip(SKIP_2) | instid1(VALU_DEP_1)
	v_add_co_ci_u32_e64 v65, null, s13, v95, vcc_lo
	.loc	1 102 21                        ; attention_bwd.py:102:21 @[ attention_bwd.py:240:70 ]
	global_load_u16 v134, v[64:65], off
	.loc	1 120 19                        ; attention_bwd.py:120:19 @[ attention_bwd.py:240:70 ]
	v_add_co_u32 v64, vcc_lo, v88, s12
	v_add_co_ci_u32_e64 v65, null, s13, v91, vcc_lo
	;; [unrolled: 11-line block ×3, first 2 shown]
	.loc	1 102 21                        ; attention_bwd.py:102:21 @[ attention_bwd.py:240:70 ]
	global_load_u16 v186, v[64:65], off
	.loc	1 117 25                        ; attention_bwd.py:117:25 @[ attention_bwd.py:240:70 ]
	s_waitcnt vmcnt(0) lgkmcnt(0)
	s_waitcnt_vscnt null, 0x0
	s_barrier
	buffer_gl0_inv
	.loc	1 104 23                        ; attention_bwd.py:104:23 @[ attention_bwd.py:240:70 ]
	s_clause 0x1                            ; 32-byte Folded Reload
	scratch_load_b128 v[241:244], off, off offset:36
	scratch_load_b128 v[245:248], off, off offset:52
	.loc	1 102 21                        ; attention_bwd.py:102:21 @[ attention_bwd.py:240:70 ]
	ds_load_u16 v188, v240
	ds_load_u16 v189, v240 offset:64
	ds_load_u16 v190, v240 offset:128
	;; [unrolled: 1-line block ×7, first 2 shown]
	.loc	1 103 21                        ; attention_bwd.py:103:21 @[ attention_bwd.py:240:70 ]
	ds_load_u16 v196, v240 offset:2048
	ds_load_u16 v197, v240 offset:2112
	ds_load_u16 v198, v240 offset:2176
	ds_load_u16 v199, v240 offset:2240
	ds_load_u16 v200, v240 offset:2304
	ds_load_u16 v201, v240 offset:2368
	ds_load_u16 v202, v240 offset:2432
	ds_load_u16 v203, v240 offset:2496
	.loc	1 102 21                        ; attention_bwd.py:102:21 @[ attention_bwd.py:240:70 ]
	s_waitcnt lgkmcnt(15)
	ds_load_u16_d16_hi v188, v240 offset:32
	s_waitcnt lgkmcnt(15)
	ds_load_u16_d16_hi v189, v240 offset:96
	;; [unrolled: 2-line block ×8, first 2 shown]
	.loc	1 103 21                        ; attention_bwd.py:103:21 @[ attention_bwd.py:240:70 ]
	s_waitcnt lgkmcnt(15)
	ds_load_u16_d16_hi v196, v240 offset:2080
	s_waitcnt lgkmcnt(15)
	ds_load_u16_d16_hi v197, v240 offset:2144
	;; [unrolled: 2-line block ×8, first 2 shown]
	.loc	1 104 23                        ; attention_bwd.py:104:23 @[ attention_bwd.py:240:70 ]
	s_waitcnt lgkmcnt(8)
	v_wmma_f32_16x16x16_f16 v[212:219], v[188:195], v[144:151], v[204:211]
	s_waitcnt vmcnt(0)
	v_wmma_f32_16x16x16_f16 v[220:227], v[188:195], v[241:248], v[204:211]
	.loc	1 112 24                        ; attention_bwd.py:112:24 @[ attention_bwd.py:240:70 ]
	s_waitcnt lgkmcnt(0)
	v_wmma_f32_16x16x16_f16 v[188:195], v[196:203], v[228:235], v[204:211]
	v_wmma_f32_16x16x16_f16 v[228:235], v[196:203], v[66:73], v[204:211]
	.loc	1 104 23                        ; attention_bwd.py:104:23 @[ attention_bwd.py:240:70 ]
	s_clause 0x1                            ; 32-byte Folded Reload
	scratch_load_b128 v[64:67], off, off offset:4
	scratch_load_b128 v[68:71], off, off offset:20
	.loc	1 102 21                        ; attention_bwd.py:102:21 @[ attention_bwd.py:240:70 ]
	ds_load_u16 v196, v240 offset:512
	ds_load_u16 v197, v240 offset:576
	;; [unrolled: 1-line block ×8, first 2 shown]
	s_waitcnt lgkmcnt(7)
	ds_load_u16_d16_hi v196, v240 offset:544
	s_waitcnt lgkmcnt(7)
	ds_load_u16_d16_hi v197, v240 offset:608
	s_waitcnt lgkmcnt(7)
	ds_load_u16_d16_hi v198, v240 offset:672
	s_waitcnt lgkmcnt(7)
	ds_load_u16_d16_hi v199, v240 offset:736
	s_waitcnt lgkmcnt(7)
	ds_load_u16_d16_hi v200, v240 offset:800
	s_waitcnt lgkmcnt(7)
	ds_load_u16_d16_hi v201, v240 offset:864
	s_waitcnt lgkmcnt(7)
	ds_load_u16_d16_hi v202, v240 offset:928
	s_waitcnt lgkmcnt(7)
	ds_load_u16_d16_hi v203, v240 offset:992
	.loc	1 104 23                        ; attention_bwd.py:104:23 @[ attention_bwd.py:240:70 ]
	s_waitcnt lgkmcnt(0)
	v_wmma_f32_16x16x16_f16 v[220:227], v[196:203], v[112:119], v[220:227]
	s_waitcnt vmcnt(0)
	v_wmma_f32_16x16x16_f16 v[212:219], v[196:203], v[64:71], v[212:219]
	s_clause 0x1                            ; 32-byte Folded Reload
	scratch_load_b128 v[64:67], off, off offset:228
	scratch_load_b128 v[68:71], off, off offset:244
	.loc	1 103 21                        ; attention_bwd.py:103:21 @[ attention_bwd.py:240:70 ]
	ds_load_u16 v196, v240 offset:2560
	ds_load_u16 v197, v240 offset:2624
	;; [unrolled: 1-line block ×8, first 2 shown]
	s_waitcnt lgkmcnt(7)
	ds_load_u16_d16_hi v196, v240 offset:2592
	s_waitcnt lgkmcnt(7)
	ds_load_u16_d16_hi v197, v240 offset:2656
	;; [unrolled: 2-line block ×8, first 2 shown]
	.loc	1 112 24                        ; attention_bwd.py:112:24 @[ attention_bwd.py:240:70 ]
	s_waitcnt lgkmcnt(0)
	v_wmma_f32_16x16x16_f16 v[188:195], v[196:203], v[176:183], v[188:195]
	v_wmma_f32_16x16x16_f16 v[228:235], v[196:203], v[168:175], v[228:235]
	.loc	1 102 21                        ; attention_bwd.py:102:21 @[ attention_bwd.py:240:70 ]
	ds_load_u16 v196, v240 offset:1024
	ds_load_u16 v197, v240 offset:1088
	ds_load_u16 v198, v240 offset:1152
	ds_load_u16 v199, v240 offset:1216
	ds_load_u16 v200, v240 offset:1280
	ds_load_u16 v201, v240 offset:1344
	ds_load_u16 v202, v240 offset:1408
	ds_load_u16 v203, v240 offset:1472
	s_waitcnt lgkmcnt(7)
	ds_load_u16_d16_hi v196, v240 offset:1056
	s_waitcnt lgkmcnt(7)
	ds_load_u16_d16_hi v197, v240 offset:1120
	s_waitcnt lgkmcnt(7)
	ds_load_u16_d16_hi v198, v240 offset:1184
	s_waitcnt lgkmcnt(7)
	ds_load_u16_d16_hi v199, v240 offset:1248
	s_waitcnt lgkmcnt(7)
	ds_load_u16_d16_hi v200, v240 offset:1312
	s_waitcnt lgkmcnt(7)
	ds_load_u16_d16_hi v201, v240 offset:1376
	s_waitcnt lgkmcnt(7)
	ds_load_u16_d16_hi v202, v240 offset:1440
	s_waitcnt lgkmcnt(7)
	ds_load_u16_d16_hi v203, v240 offset:1504
	.loc	1 104 23                        ; attention_bwd.py:104:23 @[ attention_bwd.py:240:70 ]
	s_waitcnt vmcnt(0) lgkmcnt(0)
	v_wmma_f32_16x16x16_f16 v[212:219], v[196:203], v[64:71], v[212:219]
	s_clause 0x1                            ; 32-byte Folded Reload
	scratch_load_b128 v[64:67], off, off offset:196
	scratch_load_b128 v[68:71], off, off offset:212
	s_waitcnt vmcnt(0)
	v_wmma_f32_16x16x16_f16 v[220:227], v[196:203], v[64:71], v[220:227]
	.loc	1 112 24                        ; attention_bwd.py:112:24 @[ attention_bwd.py:240:70 ]
	s_clause 0x1                            ; 32-byte Folded Reload
	scratch_load_b128 v[64:67], off, off offset:68
	scratch_load_b128 v[68:71], off, off offset:84
	.loc	1 103 21                        ; attention_bwd.py:103:21 @[ attention_bwd.py:240:70 ]
	ds_load_u16 v196, v240 offset:3072
	ds_load_u16 v197, v240 offset:3136
	;; [unrolled: 1-line block ×8, first 2 shown]
	s_waitcnt lgkmcnt(7)
	ds_load_u16_d16_hi v196, v240 offset:3104
	s_waitcnt lgkmcnt(7)
	ds_load_u16_d16_hi v197, v240 offset:3168
	s_waitcnt lgkmcnt(7)
	ds_load_u16_d16_hi v198, v240 offset:3232
	s_waitcnt lgkmcnt(7)
	ds_load_u16_d16_hi v199, v240 offset:3296
	s_waitcnt lgkmcnt(7)
	ds_load_u16_d16_hi v200, v240 offset:3360
	s_waitcnt lgkmcnt(7)
	ds_load_u16_d16_hi v201, v240 offset:3424
	s_waitcnt lgkmcnt(7)
	ds_load_u16_d16_hi v202, v240 offset:3488
	s_waitcnt lgkmcnt(7)
	ds_load_u16_d16_hi v203, v240 offset:3552
	.loc	1 112 24                        ; attention_bwd.py:112:24 @[ attention_bwd.py:240:70 ]
	s_waitcnt vmcnt(0) lgkmcnt(0)
	v_wmma_f32_16x16x16_f16 v[188:195], v[196:203], v[64:71], v[188:195]
	s_clause 0x1                            ; 32-byte Folded Reload
	scratch_load_b128 v[64:67], off, off offset:292
	scratch_load_b128 v[68:71], off, off offset:308
	s_waitcnt vmcnt(0)
	v_wmma_f32_16x16x16_f16 v[228:235], v[196:203], v[64:71], v[228:235]
	s_clause 0x1                            ; 32-byte Folded Reload
	scratch_load_b128 v[64:67], off, off offset:260
	scratch_load_b128 v[68:71], off, off offset:276
	.loc	1 102 21                        ; attention_bwd.py:102:21 @[ attention_bwd.py:240:70 ]
	ds_load_u16 v196, v240 offset:1536
	ds_load_u16 v197, v240 offset:1600
	ds_load_u16 v198, v240 offset:1664
	ds_load_u16 v199, v240 offset:1728
	ds_load_u16 v200, v240 offset:1792
	ds_load_u16 v201, v240 offset:1856
	ds_load_u16 v202, v240 offset:1920
	ds_load_u16 v203, v240 offset:1984
	s_waitcnt lgkmcnt(7)
	ds_load_u16_d16_hi v196, v240 offset:1568
	s_waitcnt lgkmcnt(7)
	ds_load_u16_d16_hi v197, v240 offset:1632
	;; [unrolled: 2-line block ×8, first 2 shown]
	.loc	1 104 23                        ; attention_bwd.py:104:23 @[ attention_bwd.py:240:70 ]
	s_waitcnt lgkmcnt(0)
	v_wmma_f32_16x16x16_f16 v[212:219], v[196:203], v[136:143], v[212:219]
	v_wmma_f32_16x16x16_f16 v[220:227], v[196:203], v[152:159], v[220:227]
	.loc	1 103 21                        ; attention_bwd.py:103:21 @[ attention_bwd.py:240:70 ]
	ds_load_u16 v196, v240 offset:3584
	ds_load_u16 v197, v240 offset:3648
	;; [unrolled: 1-line block ×8, first 2 shown]
	s_waitcnt lgkmcnt(7)
	ds_load_u16_d16_hi v196, v240 offset:3616
	s_waitcnt lgkmcnt(7)
	ds_load_u16_d16_hi v197, v240 offset:3680
	;; [unrolled: 2-line block ×8, first 2 shown]
	.loc	1 112 24                        ; attention_bwd.py:112:24 @[ attention_bwd.py:240:70 ]
	s_waitcnt lgkmcnt(0)
	v_wmma_f32_16x16x16_f16 v[228:235], v[196:203], v[160:167], v[228:235]
	s_delay_alu instid0(VALU_DEP_1) | instskip(NEXT) | instid1(VALU_DEP_2)
	.loc	1 113 23                        ; attention_bwd.py:113:23 @[ attention_bwd.py:240:70 ]
	v_sub_f32_e32 v113, v229, v131
	v_sub_f32_e32 v115, v231, v131
	s_delay_alu instid0(VALU_DEP_3) | instskip(NEXT) | instid1(VALU_DEP_4)
	v_sub_f32_e32 v117, v233, v131
	v_sub_f32_e32 v119, v235, v131
	;; [unrolled: 1-line block ×5, first 2 shown]
	.loc	1 112 24                        ; attention_bwd.py:112:24 @[ attention_bwd.py:240:70 ]
	s_waitcnt vmcnt(0)
	v_wmma_f32_16x16x16_f16 v[188:195], v[196:203], v[64:71], v[188:195]
	.loc	1 105 30                        ; attention_bwd.py:105:30 @[ attention_bwd.py:240:70 ]
	v_sub_f32_e32 v64, v212, v252
	v_sub_f32_e32 v65, v213, v252
	;; [unrolled: 1-line block ×3, first 2 shown]
	s_delay_alu instid0(VALU_DEP_4)
	v_dual_sub_f32 v66, v214, v252 :: v_dual_sub_f32 v75, v191, v130
	.loc	1 113 23                        ; attention_bwd.py:113:23 @[ attention_bwd.py:240:70 ]
	v_sub_f32_e32 v72, v188, v130
	v_sub_f32_e32 v73, v189, v130
	.loc	1 105 25                        ; attention_bwd.py:105:25 @[ attention_bwd.py:240:70 ]
	v_exp_f32_e32 v64, v64
	v_exp_f32_e32 v65, v65
	.loc	1 108 30                        ; attention_bwd.py:108:30 @[ attention_bwd.py:240:70 ]
	v_add_nc_u32_e32 v112, s3, v120
	.loc	1 113 23                        ; attention_bwd.py:113:23 @[ attention_bwd.py:240:70 ]
	v_sub_f32_e32 v74, v190, v130
	.loc	1 105 25                        ; attention_bwd.py:105:25 @[ attention_bwd.py:240:70 ]
	v_exp_f32_e32 v67, v67
	.loc	1 105 30 is_stmt 0              ; attention_bwd.py:105:30 @[ attention_bwd.py:240:70 ]
	v_dual_sub_f32 v68, v216, v252 :: v_dual_sub_f32 v77, v193, v130
	s_delay_alu instid0(VALU_DEP_3) | instskip(SKIP_2) | instid1(TRANS32_DEP_3)
	.loc	1 110 34 is_stmt 1              ; attention_bwd.py:110:34 @[ attention_bwd.py:240:70 ]
	v_cmp_ge_i32_e32 vcc_lo, v239, v112
	.loc	1 105 30                        ; attention_bwd.py:105:30 @[ attention_bwd.py:240:70 ]
	v_dual_sub_f32 v69, v217, v252 :: v_dual_sub_f32 v76, v192, v130
	v_dual_sub_f32 v70, v218, v252 :: v_dual_sub_f32 v79, v195, v130
	.loc	1 110 34                        ; attention_bwd.py:110:34 @[ attention_bwd.py:240:70 ]
	v_cndmask_b32_e32 v64, 0, v64, vcc_lo
	s_delay_alu instid0(VALU_DEP_3)
	.loc	1 105 25                        ; attention_bwd.py:105:25 @[ attention_bwd.py:240:70 ]
	v_exp_f32_e32 v69, v69
	.loc	1 105 30 is_stmt 0              ; attention_bwd.py:105:30 @[ attention_bwd.py:240:70 ]
	v_dual_sub_f32 v71, v219, v252 :: v_dual_sub_f32 v78, v194, v130
	.loc	1 117 25 is_stmt 1              ; attention_bwd.py:117:25 @[ attention_bwd.py:240:70 ]
	ds_load_b128 v[196:199], v126
	ds_load_b128 v[200:203], v126 offset:16
	ds_load_b128 v[204:207], v126 offset:512
	;; [unrolled: 1-line block ×7, first 2 shown]
	.loc	1 114 19                        ; attention_bwd.py:114:19 @[ attention_bwd.py:240:70 ]
	v_fma_mixlo_f16 v64, v64, v72, 0
	.loc	1 108 30                        ; attention_bwd.py:108:30 @[ attention_bwd.py:240:70 ]
	v_add_nc_u32_e32 v72, 2, v112
	.loc	1 105 25                        ; attention_bwd.py:105:25 @[ attention_bwd.py:240:70 ]
	v_exp_f32_e32 v71, v71
	.loc	1 101 25                        ; attention_bwd.py:101:25 @[ attention_bwd.py:240:70 ]
	s_add_i32 s3, s3, 16
	s_delay_alu instid0(SALU_CYCLE_1) | instskip(NEXT) | instid1(VALU_DEP_1)
	s_cmpk_lg_i32 s3, 0x70
	.loc	1 110 34                        ; attention_bwd.py:110:34 @[ attention_bwd.py:240:70 ]
	v_cmp_ge_i32_e32 vcc_lo, v239, v72
	v_cndmask_b32_e32 v65, 0, v65, vcc_lo
	v_cmp_ge_i32_e64 s0, v250, v112
	s_delay_alu instid0(VALU_DEP_2) | instskip(SKIP_3) | instid1(VALU_DEP_2)
	.loc	1 114 19                        ; attention_bwd.py:114:19 @[ attention_bwd.py:240:70 ]
	v_fma_mixhi_f16 v64, v65, v73, 0
	.loc	1 105 25                        ; attention_bwd.py:105:25 @[ attention_bwd.py:240:70 ]
	v_exp_f32_e32 v65, v66
	.loc	1 108 30                        ; attention_bwd.py:108:30 @[ attention_bwd.py:240:70 ]
	v_add_nc_u32_e32 v66, 4, v112
	v_add_nc_u32_e32 v73, 6, v112
	.loc	1 110 34                        ; attention_bwd.py:110:34 @[ attention_bwd.py:240:70 ]
	v_cmp_ge_i32_e32 vcc_lo, v239, v66
	s_waitcnt_depctr depctr_va_vdst(0)
	v_cndmask_b32_e32 v65, 0, v65, vcc_lo
	v_cmp_ge_i32_e32 vcc_lo, v239, v73
	s_delay_alu instid0(VALU_DEP_2) | instskip(SKIP_1) | instid1(VALU_DEP_1)
	.loc	1 114 19                        ; attention_bwd.py:114:19 @[ attention_bwd.py:240:70 ]
	v_fma_mixlo_f16 v65, v65, v74, 0
	.loc	1 110 34                        ; attention_bwd.py:110:34 @[ attention_bwd.py:240:70 ]
	v_dual_cndmask_b32 v67, 0, v67 :: v_dual_add_nc_u32 v74, 10, v112
	.loc	1 114 19                        ; attention_bwd.py:114:19 @[ attention_bwd.py:240:70 ]
	v_fma_mixhi_f16 v65, v67, v75, 0
	.loc	1 105 25                        ; attention_bwd.py:105:25 @[ attention_bwd.py:240:70 ]
	v_exp_f32_e32 v67, v68
	.loc	1 108 30                        ; attention_bwd.py:108:30 @[ attention_bwd.py:240:70 ]
	v_add_nc_u32_e32 v68, 8, v112
	.loc	1 109 39                        ; attention_bwd.py:109:39 @[ attention_bwd.py:240:70 ]
	v_add_nc_u32_e32 v75, 14, v112
	s_delay_alu instid0(VALU_DEP_2) | instskip(SKIP_3) | instid1(VALU_DEP_2)
	.loc	1 110 34                        ; attention_bwd.py:110:34 @[ attention_bwd.py:240:70 ]
	v_cmp_ge_i32_e32 vcc_lo, v239, v68
	s_waitcnt_depctr depctr_va_vdst(0)
	v_cndmask_b32_e32 v67, 0, v67, vcc_lo
	v_cmp_ge_i32_e32 vcc_lo, v239, v74
	.loc	1 114 19                        ; attention_bwd.py:114:19 @[ attention_bwd.py:240:70 ]
	v_fma_mixlo_f16 v67, v67, v76, 0
	.loc	1 110 34                        ; attention_bwd.py:110:34 @[ attention_bwd.py:240:70 ]
	v_cndmask_b32_e32 v69, 0, v69, vcc_lo
	.loc	1 105 30                        ; attention_bwd.py:105:30 @[ attention_bwd.py:240:70 ]
	v_sub_f32_e32 v76, v225, v253
	s_delay_alu instid0(VALU_DEP_2) | instskip(SKIP_2) | instid1(VALU_DEP_1)
	.loc	1 114 19                        ; attention_bwd.py:114:19 @[ attention_bwd.py:240:70 ]
	v_fma_mixhi_f16 v67, v69, v77, 0
	.loc	1 105 25                        ; attention_bwd.py:105:25 @[ attention_bwd.py:240:70 ]
	v_exp_f32_e32 v69, v70
	.loc	1 105 30 is_stmt 0              ; attention_bwd.py:105:30 @[ attention_bwd.py:240:70 ]
	v_dual_sub_f32 v77, v226, v253 :: v_dual_add_nc_u32 v70, 12, v112
	.loc	1 110 34 is_stmt 1              ; attention_bwd.py:110:34 @[ attention_bwd.py:240:70 ]
	v_cmp_ge_i32_e32 vcc_lo, v239, v70
	s_waitcnt_depctr depctr_va_vdst(0)
	v_cndmask_b32_e32 v69, 0, v69, vcc_lo
	v_cmp_ge_i32_e32 vcc_lo, v239, v75
	s_delay_alu instid0(VALU_DEP_2) | instskip(SKIP_2) | instid1(VALU_DEP_2)
	.loc	1 114 19                        ; attention_bwd.py:114:19 @[ attention_bwd.py:240:70 ]
	v_fma_mixlo_f16 v69, v69, v78, 0
	.loc	1 110 34                        ; attention_bwd.py:110:34 @[ attention_bwd.py:240:70 ]
	v_dual_cndmask_b32 v71, 0, v71 :: v_dual_sub_f32 v78, v227, v253
	v_cmp_ge_i32_e32 vcc_lo, v250, v72
	.loc	1 114 19                        ; attention_bwd.py:114:19 @[ attention_bwd.py:240:70 ]
	v_fma_mixhi_f16 v69, v71, v79, 0
	v_permlanex16_b32 v71, v64, s1, 0xfedcba98 op_sel:[1,0]
	.loc	1 113 23                        ; attention_bwd.py:113:23 @[ attention_bwd.py:240:70 ]
	v_sub_f32_e32 v79, v228, v131
	s_clause 0x1                            ; 32-byte Folded Reload
	scratch_load_b128 v[228:231], off, off offset:324
	scratch_load_b128 v[232:235], off, off offset:340
	.loc	1 114 19                        ; attention_bwd.py:114:19 @[ attention_bwd.py:240:70 ]
	v_perm_b32 v188, v71, v64, v129
	v_perm_b32 v189, v71, v64, v254
	v_permlanex16_b32 v64, v65, s1, 0xfedcba98 op_sel:[1,0]
	.loc	1 105 30                        ; attention_bwd.py:105:30 @[ attention_bwd.py:240:70 ]
	v_sub_f32_e32 v71, v224, v253
	s_delay_alu instid0(VALU_DEP_2) | instskip(SKIP_3) | instid1(VALU_DEP_2)
	.loc	1 114 19                        ; attention_bwd.py:114:19 @[ attention_bwd.py:240:70 ]
	v_perm_b32 v190, v64, v65, v129
	v_perm_b32 v191, v64, v65, v254
	v_permlanex16_b32 v64, v67, s1, 0xfedcba98 op_sel:[1,0]
	.loc	1 105 30                        ; attention_bwd.py:105:30 @[ attention_bwd.py:240:70 ]
	v_sub_f32_e32 v65, v221, v253
	.loc	1 114 19                        ; attention_bwd.py:114:19 @[ attention_bwd.py:240:70 ]
	v_perm_b32 v192, v64, v67, v129
	v_perm_b32 v193, v64, v67, v254
	v_permlanex16_b32 v64, v69, s1, 0xfedcba98 op_sel:[1,0]
	s_delay_alu instid0(VALU_DEP_4) | instskip(SKIP_1) | instid1(VALU_DEP_2)
	.loc	1 105 25                        ; attention_bwd.py:105:25 @[ attention_bwd.py:240:70 ]
	v_exp_f32_e32 v65, v65
	.loc	1 105 30 is_stmt 0              ; attention_bwd.py:105:30 @[ attention_bwd.py:240:70 ]
	v_sub_f32_e32 v67, v222, v253
	.loc	1 114 19 is_stmt 1              ; attention_bwd.py:114:19 @[ attention_bwd.py:240:70 ]
	v_perm_b32 v194, v64, v69, v129
	v_perm_b32 v195, v64, v69, v254
	.loc	1 105 30                        ; attention_bwd.py:105:30 @[ attention_bwd.py:240:70 ]
	v_sub_f32_e32 v64, v220, v253
	v_sub_f32_e32 v69, v223, v253
	.loc	1 105 25 is_stmt 0              ; attention_bwd.py:105:25 @[ attention_bwd.py:240:70 ]
	v_exp_f32_e32 v67, v67
	s_delay_alu instid0(TRANS32_DEP_2) | instskip(NEXT) | instid1(VALU_DEP_3)
	.loc	1 110 34 is_stmt 1              ; attention_bwd.py:110:34 @[ attention_bwd.py:240:70 ]
	v_cndmask_b32_e32 v65, 0, v65, vcc_lo
	.loc	1 105 25                        ; attention_bwd.py:105:25 @[ attention_bwd.py:240:70 ]
	v_exp_f32_e32 v64, v64
	.loc	1 110 34                        ; attention_bwd.py:110:34 @[ attention_bwd.py:240:70 ]
	v_cmp_ge_i32_e32 vcc_lo, v250, v73
	.loc	1 117 25                        ; attention_bwd.py:117:25 @[ attention_bwd.py:240:70 ]
	s_waitcnt lgkmcnt(6)
	v_wmma_f32_16x16x16_f16 v[8:15], v[196:203], v[188:195], v[8:15]
	s_waitcnt lgkmcnt(4)
	v_wmma_f32_16x16x16_f16 v[16:23], v[204:211], v[188:195], v[16:23]
	;; [unrolled: 2-line block ×4, first 2 shown]
	.loc	1 110 34                        ; attention_bwd.py:110:34 @[ attention_bwd.py:240:70 ]
	s_waitcnt_depctr depctr_va_vdst(0)
	v_cndmask_b32_e64 v64, 0, v64, s0
	v_cmp_ge_i32_e64 s0, v250, v66
	s_delay_alu instid0(VALU_DEP_2) | instskip(NEXT) | instid1(VALU_DEP_2)
	.loc	1 114 19                        ; attention_bwd.py:114:19 @[ attention_bwd.py:240:70 ]
	v_fma_mixlo_f16 v64, v64, v79, 0
	.loc	1 110 34                        ; attention_bwd.py:110:34 @[ attention_bwd.py:240:70 ]
	v_cndmask_b32_e64 v66, 0, v67, s0
	.loc	1 105 25                        ; attention_bwd.py:105:25 @[ attention_bwd.py:240:70 ]
	v_exp_f32_e32 v67, v71
	.loc	1 110 34                        ; attention_bwd.py:110:34 @[ attention_bwd.py:240:70 ]
	v_cmp_ge_i32_e64 s0, v250, v68
	.loc	1 105 25                        ; attention_bwd.py:105:25 @[ attention_bwd.py:240:70 ]
	v_exp_f32_e32 v68, v77
	.loc	1 114 19                        ; attention_bwd.py:114:19 @[ attention_bwd.py:240:70 ]
	v_fma_mixhi_f16 v64, v65, v113, 0
	.loc	1 105 25                        ; attention_bwd.py:105:25 @[ attention_bwd.py:240:70 ]
	v_exp_f32_e32 v65, v69
	.loc	1 114 19                        ; attention_bwd.py:114:19 @[ attention_bwd.py:240:70 ]
	v_fma_mixlo_f16 v66, v66, v114, 0
	s_delay_alu instid0(TRANS32_DEP_3)
	.loc	1 110 34                        ; attention_bwd.py:110:34 @[ attention_bwd.py:240:70 ]
	v_cndmask_b32_e64 v67, 0, v67, s0
	v_cmp_ge_i32_e64 s0, v250, v70
	s_waitcnt_depctr depctr_va_vdst(0)
	v_cndmask_b32_e32 v65, 0, v65, vcc_lo
	v_cmp_ge_i32_e32 vcc_lo, v250, v74
	.loc	1 114 19                        ; attention_bwd.py:114:19 @[ attention_bwd.py:240:70 ]
	v_fma_mixlo_f16 v67, v67, v116, 0
	.loc	1 110 34                        ; attention_bwd.py:110:34 @[ attention_bwd.py:240:70 ]
	v_cndmask_b32_e64 v68, 0, v68, s0
	s_delay_alu instid0(VALU_DEP_4) | instskip(SKIP_1) | instid1(VALU_DEP_2)
	.loc	1 114 19                        ; attention_bwd.py:114:19 @[ attention_bwd.py:240:70 ]
	v_fma_mixhi_f16 v66, v65, v115, 0
	.loc	1 105 25                        ; attention_bwd.py:105:25 @[ attention_bwd.py:240:70 ]
	v_exp_f32_e32 v65, v76
	.loc	1 114 19                        ; attention_bwd.py:114:19 @[ attention_bwd.py:240:70 ]
	v_fma_mixlo_f16 v68, v68, v118, 0
	.loc	1 110 34                        ; attention_bwd.py:110:34 @[ attention_bwd.py:240:70 ]
	s_waitcnt_depctr depctr_va_vdst(0)
	v_cndmask_b32_e32 v65, 0, v65, vcc_lo
	v_cmp_ge_i32_e32 vcc_lo, v250, v75
	s_delay_alu instid0(VALU_DEP_2) | instskip(SKIP_3) | instid1(VALU_DEP_1)
	.loc	1 114 19                        ; attention_bwd.py:114:19 @[ attention_bwd.py:240:70 ]
	v_fma_mixhi_f16 v67, v65, v117, 0
	.loc	1 105 25                        ; attention_bwd.py:105:25 @[ attention_bwd.py:240:70 ]
	v_exp_f32_e32 v65, v78
	.loc	1 110 34                        ; attention_bwd.py:110:34 @[ attention_bwd.py:240:70 ]
	s_waitcnt_depctr depctr_va_vdst(0)
	v_cndmask_b32_e32 v65, 0, v65, vcc_lo
	.loc	1 114 19                        ; attention_bwd.py:114:19 @[ attention_bwd.py:240:70 ]
	v_fma_mixhi_f16 v68, v65, v119, 0
	v_permlanex16_b32 v65, v64, s1, 0xfedcba98 op_sel:[1,0]
	s_clause 0x1                            ; 32-byte Folded Reload
	scratch_load_b128 v[112:115], off, off offset:100
	scratch_load_b128 v[116:119], off, off offset:116
	v_perm_b32 v188, v65, v64, v129
	v_perm_b32 v189, v65, v64, v254
	v_permlanex16_b32 v64, v66, s1, 0xfedcba98 op_sel:[1,0]
	s_delay_alu instid0(VALU_DEP_1) | instskip(SKIP_2) | instid1(VALU_DEP_1)
	v_perm_b32 v190, v64, v66, v129
	v_perm_b32 v191, v64, v66, v254
	v_permlanex16_b32 v64, v67, s1, 0xfedcba98 op_sel:[1,0]
	v_perm_b32 v192, v64, v67, v129
	v_perm_b32 v193, v64, v67, v254
	v_permlanex16_b32 v64, v68, s1, 0xfedcba98 op_sel:[1,0]
	s_delay_alu instid0(VALU_DEP_1) | instskip(SKIP_2) | instid1(VALU_DEP_1)
	v_perm_b32 v194, v64, v68, v129
	v_perm_b32 v195, v64, v68, v254
	.loc	1 121 19                        ; attention_bwd.py:121:19 @[ attention_bwd.py:240:70 ]
	v_add_co_u32 v64, vcc_lo, v109, s12
	v_add_co_ci_u32_e64 v65, null, s13, v110, vcc_lo
	s_delay_alu instid0(VALU_DEP_3) | instskip(SKIP_4) | instid1(VALU_DEP_1)
	.loc	1 117 25                        ; attention_bwd.py:117:25 @[ attention_bwd.py:240:70 ]
	v_wmma_f32_16x16x16_f16 v[40:47], v[196:203], v[188:195], v[40:47]
	v_wmma_f32_16x16x16_f16 v[48:55], v[204:211], v[188:195], v[48:55]
	;; [unrolled: 1-line block ×3, first 2 shown]
	.loc	1 103 21                        ; attention_bwd.py:103:21 @[ attention_bwd.py:240:70 ]
	global_load_u16 v66, v[64:65], off
	.loc	1 121 19                        ; attention_bwd.py:121:19 @[ attention_bwd.py:240:70 ]
	v_add_co_u32 v64, vcc_lo, v105, s12
	v_add_co_ci_u32_e64 v65, null, s13, v106, vcc_lo
	.loc	1 117 25                        ; attention_bwd.py:117:25 @[ attention_bwd.py:240:70 ]
	v_wmma_f32_16x16x16_f16 v[0:7], v[241:248], v[188:195], v[0:7]
	.loc	1 103 21                        ; attention_bwd.py:103:21 @[ attention_bwd.py:240:70 ]
	global_load_u16 v67, v[64:65], off
	.loc	1 121 19                        ; attention_bwd.py:121:19 @[ attention_bwd.py:240:70 ]
	v_add_co_u32 v64, vcc_lo, v101, s12
	s_delay_alu instid0(VALU_DEP_1) | instskip(SKIP_2) | instid1(VALU_DEP_1)
	v_add_co_ci_u32_e64 v65, null, s13, v102, vcc_lo
	.loc	1 103 21                        ; attention_bwd.py:103:21 @[ attention_bwd.py:240:70 ]
	global_load_u16 v68, v[64:65], off
	.loc	1 121 19                        ; attention_bwd.py:121:19 @[ attention_bwd.py:240:70 ]
	v_add_co_u32 v64, vcc_lo, v97, s12
	v_add_co_ci_u32_e64 v65, null, s13, v98, vcc_lo
	.loc	1 103 21                        ; attention_bwd.py:103:21 @[ attention_bwd.py:240:70 ]
	global_load_u16 v69, v[64:65], off
	.loc	1 121 19                        ; attention_bwd.py:121:19 @[ attention_bwd.py:240:70 ]
	v_add_co_u32 v64, vcc_lo, v93, s12
	s_delay_alu instid0(VALU_DEP_1) | instskip(SKIP_2) | instid1(VALU_DEP_1)
	v_add_co_ci_u32_e64 v65, null, s13, v94, vcc_lo
	.loc	1 103 21                        ; attention_bwd.py:103:21 @[ attention_bwd.py:240:70 ]
	global_load_u16 v70, v[64:65], off
	.loc	1 121 19                        ; attention_bwd.py:121:19 @[ attention_bwd.py:240:70 ]
	v_add_co_u32 v64, vcc_lo, v89, s12
	v_add_co_ci_u32_e64 v65, null, s13, v90, vcc_lo
	;; [unrolled: 11-line block ×3, first 2 shown]
	.loc	1 101 25                        ; attention_bwd.py:101:25 @[ attention_bwd.py:240:70 ]
	v_add_co_u32 v81, vcc_lo, v81, s8
	s_delay_alu instid0(VALU_DEP_1) | instskip(SKIP_2) | instid1(VALU_DEP_1)
	v_add_co_ci_u32_e64 v82, null, s9, v82, vcc_lo
	.loc	1 103 21                        ; attention_bwd.py:103:21 @[ attention_bwd.py:240:70 ]
	global_load_u16 v64, v[64:65], off
	.loc	1 101 25                        ; attention_bwd.py:101:25 @[ attention_bwd.py:240:70 ]
	v_add_co_u32 v85, vcc_lo, v85, s8
	v_add_co_ci_u32_e64 v86, null, s9, v86, vcc_lo
	v_add_co_u32 v89, vcc_lo, v89, s8
	s_delay_alu instid0(VALU_DEP_1) | instskip(SKIP_1) | instid1(VALU_DEP_1)
	v_add_co_ci_u32_e64 v90, null, s9, v90, vcc_lo
	v_add_co_u32 v93, vcc_lo, v93, s8
	v_add_co_ci_u32_e64 v94, null, s9, v94, vcc_lo
	v_add_co_u32 v97, vcc_lo, v97, s8
	s_delay_alu instid0(VALU_DEP_1) | instskip(SKIP_1) | instid1(VALU_DEP_1)
	v_add_co_ci_u32_e64 v98, null, s9, v98, vcc_lo
	;; [unrolled: 5-line block ×7, first 2 shown]
	v_add_co_u32 v108, vcc_lo, v108, s8
	v_add_co_ci_u32_e64 v111, null, s9, v111, vcc_lo
	.loc	1 102 21                        ; attention_bwd.py:102:21 @[ attention_bwd.py:240:70 ]
	s_waitcnt vmcnt(0)
	s_barrier
	buffer_gl0_inv
	ds_store_b16 v255, v187
	ds_store_b16 v255, v128 offset:256
	ds_store_b16 v255, v132 offset:512
	ds_store_b16 v255, v133 offset:768
	ds_store_b16 v255, v134 offset:1024
	ds_store_b16 v255, v135 offset:1280
	ds_store_b16 v255, v184 offset:1536
	ds_store_b16 v255, v186 offset:1792
	.loc	1 103 21                        ; attention_bwd.py:103:21 @[ attention_bwd.py:240:70 ]
	ds_store_b16 v255, v66 offset:2048
	ds_store_b16 v255, v67 offset:2304
	;; [unrolled: 1-line block ×7, first 2 shown]
	s_clause 0x1                            ; 32-byte Folded Reload
	scratch_load_b128 v[66:69], off, off offset:132
	scratch_load_b128 v[70:73], off, off offset:148
	ds_store_b16 v255, v64 offset:3840
	.loc	1 101 25                        ; attention_bwd.py:101:25 @[ attention_bwd.py:240:70 ]
	s_cbranch_scc1 .LBB0_143
; %bb.144:
	.loc	1 0 25 is_stmt 0                ; attention_bwd.py:0:25
	v_dual_mov_b32 v201, v151 :: v_dual_mov_b32 v200, v150
	.loc	1 117 25 is_stmt 1              ; attention_bwd.py:117:25 @[ attention_bwd.py:240:70 ]
	s_waitcnt vmcnt(0) lgkmcnt(0)
	s_barrier
	buffer_gl0_inv
	v_dual_mov_b32 v199, v149 :: v_dual_mov_b32 v198, v148
	v_dual_mov_b32 v197, v147 :: v_dual_mov_b32 v196, v146
	;; [unrolled: 1-line block ×3, first 2 shown]
	s_clause 0x1                            ; 32-byte Folded Reload
	scratch_load_b128 v[144:147], off, off offset:36
	scratch_load_b128 v[148:151], off, off offset:52
	.loc	1 102 21                        ; attention_bwd.py:102:21 @[ attention_bwd.py:240:70 ]
	ds_load_u16 v80, v240
	ds_load_u16 v81, v240 offset:64
	ds_load_u16 v82, v240 offset:128
	;; [unrolled: 1-line block ×15, first 2 shown]
	s_waitcnt lgkmcnt(15)
	ds_load_u16_d16_hi v80, v240 offset:32
	s_waitcnt lgkmcnt(15)
	ds_load_u16_d16_hi v81, v240 offset:96
	;; [unrolled: 2-line block ×8, first 2 shown]
	s_mov_b32 s20, 0
	s_waitcnt lgkmcnt(15)
	ds_load_u16_d16_hi v88, v240 offset:544
	s_waitcnt lgkmcnt(15)
	ds_load_u16_d16_hi v89, v240 offset:608
	;; [unrolled: 2-line block ×8, first 2 shown]
	.loc	1 104 23                        ; attention_bwd.py:104:23 @[ attention_bwd.py:240:70 ]
	s_mov_b32 s27, s20
	s_mov_b32 s21, s20
	;; [unrolled: 1-line block ×7, first 2 shown]
	s_delay_alu instid0(SALU_CYCLE_1)
	v_dual_mov_b32 v103, s27 :: v_dual_mov_b32 v102, s26
	v_dual_mov_b32 v101, s25 :: v_dual_mov_b32 v100, s24
	;; [unrolled: 1-line block ×4, first 2 shown]
	s_clause 0x7                            ; 128-byte Folded Spill
	scratch_store_b128 off, v[136:139], off offset:1428
	scratch_store_b128 off, v[140:143], off offset:1444
	;; [unrolled: 1-line block ×8, first 2 shown]
	s_waitcnt lgkmcnt(8)
	v_wmma_f32_16x16x16_f16 v[104:111], v[80:87], v[194:201], v[96:103]
	.loc	1 101 25                        ; attention_bwd.py:101:25 @[ attention_bwd.py:240:70 ]
	s_or_b32 s0, s14, 0x70
.Ltmp115:
	.loc	1 245 29                        ; attention_bwd.py:245:29
	s_ashr_i32 s1, s14, 5
	s_delay_alu instid0(SALU_CYCLE_1)
.Ltmp116:
	.loc	1 101 25                        ; attention_bwd.py:101:25 @[ attention_bwd.py:253:40 ]
	s_cmp_gt_i32 s1, 0
	s_cselect_b32 s3, -1, 0
	s_cmp_lt_i32 s1, 1
.Ltmp117:
	.loc	1 104 23                        ; attention_bwd.py:104:23 @[ attention_bwd.py:240:70 ]
	s_waitcnt vmcnt(0)
	v_wmma_f32_16x16x16_f16 v[186:193], v[80:87], v[144:151], v[96:103]
	s_clause 0x1                            ; 32-byte Folded Reload
	scratch_load_b128 v[74:77], off, off offset:4
	scratch_load_b128 v[78:81], off, off offset:20
	s_waitcnt lgkmcnt(0)
	v_wmma_f32_16x16x16_f16 v[186:193], v[88:95], v[112:119], v[186:193]
	scratch_load_b64 v[112:113], off, off offset:2268 ; 8-byte Folded Reload
	s_waitcnt vmcnt(1)
	v_wmma_f32_16x16x16_f16 v[104:111], v[88:95], v[74:81], v[104:111]
	s_clause 0x1                            ; 32-byte Folded Reload
	scratch_load_b128 v[88:91], off, off offset:228
	scratch_load_b128 v[92:95], off, off offset:244
	.loc	1 102 21                        ; attention_bwd.py:102:21 @[ attention_bwd.py:240:70 ]
	ds_load_u16 v80, v240 offset:1024
	ds_load_u16 v81, v240 offset:1088
	;; [unrolled: 1-line block ×8, first 2 shown]
	s_waitcnt lgkmcnt(7)
	ds_load_u16_d16_hi v80, v240 offset:1056
	s_waitcnt lgkmcnt(7)
	ds_load_u16_d16_hi v81, v240 offset:1120
	;; [unrolled: 2-line block ×8, first 2 shown]
	.loc	1 104 23                        ; attention_bwd.py:104:23 @[ attention_bwd.py:240:70 ]
	s_waitcnt vmcnt(0) lgkmcnt(0)
	v_wmma_f32_16x16x16_f16 v[104:111], v[80:87], v[88:95], v[104:111]
	s_clause 0x1                            ; 32-byte Folded Reload
	scratch_load_b128 v[88:91], off, off offset:196
	scratch_load_b128 v[92:95], off, off offset:212
	s_waitcnt vmcnt(0)
	v_wmma_f32_16x16x16_f16 v[186:193], v[80:87], v[88:95], v[186:193]
	.loc	1 102 21                        ; attention_bwd.py:102:21 @[ attention_bwd.py:240:70 ]
	ds_load_u16 v80, v240 offset:1536
	ds_load_u16 v81, v240 offset:1600
	ds_load_u16 v82, v240 offset:1664
	ds_load_u16 v83, v240 offset:1728
	ds_load_u16 v84, v240 offset:1792
	ds_load_u16 v85, v240 offset:1856
	ds_load_u16 v86, v240 offset:1920
	ds_load_u16 v87, v240 offset:1984
	s_waitcnt lgkmcnt(7)
	ds_load_u16_d16_hi v80, v240 offset:1568
	s_waitcnt lgkmcnt(7)
	ds_load_u16_d16_hi v81, v240 offset:1632
	;; [unrolled: 2-line block ×8, first 2 shown]
	.loc	1 104 23                        ; attention_bwd.py:104:23 @[ attention_bwd.py:240:70 ]
	s_waitcnt lgkmcnt(0)
	v_wmma_f32_16x16x16_f16 v[104:111], v[80:87], v[136:143], v[104:111]
	v_wmma_f32_16x16x16_f16 v[186:193], v[80:87], v[152:159], v[186:193]
	.loc	1 103 21                        ; attention_bwd.py:103:21 @[ attention_bwd.py:240:70 ]
	ds_load_u16 v80, v240 offset:2048
	ds_load_u16 v81, v240 offset:2112
	;; [unrolled: 1-line block ×8, first 2 shown]
	s_waitcnt lgkmcnt(7)
	ds_load_u16_d16_hi v80, v240 offset:2080
	s_waitcnt lgkmcnt(7)
	ds_load_u16_d16_hi v81, v240 offset:2144
	;; [unrolled: 2-line block ×8, first 2 shown]
	.loc	1 105 30                        ; attention_bwd.py:105:30 @[ attention_bwd.py:240:70 ]
	v_sub_f32_e32 v75, v189, v253
	v_sub_f32_e32 v74, v188, v253
	;; [unrolled: 1-line block ×6, first 2 shown]
	v_dual_mov_b32 v152, v194 :: v_dual_mov_b32 v153, v195
	v_mov_b32_e32 v155, v197
	v_mov_b32_e32 v157, v199
	v_dual_mov_b32 v159, v201 :: v_dual_mov_b32 v154, v196
	v_mov_b32_e32 v156, v198
	v_mov_b32_e32 v158, v200
	.loc	1 112 24                        ; attention_bwd.py:112:24 @[ attention_bwd.py:240:70 ]
	s_waitcnt lgkmcnt(0)
	v_wmma_f32_16x16x16_f16 v[88:95], v[80:87], v[228:235], v[96:103]
	v_wmma_f32_16x16x16_f16 v[96:103], v[80:87], v[66:73], v[96:103]
	s_clause 0x1                            ; 32-byte Folded Reload
	scratch_load_b128 v[64:67], off, off offset:68
	scratch_load_b128 v[68:71], off, off offset:84
	.loc	1 103 21                        ; attention_bwd.py:103:21 @[ attention_bwd.py:240:70 ]
	ds_load_u16 v80, v240 offset:2560
	ds_load_u16 v81, v240 offset:2624
	;; [unrolled: 1-line block ×8, first 2 shown]
	s_waitcnt lgkmcnt(7)
	ds_load_u16_d16_hi v80, v240 offset:2592
	s_waitcnt lgkmcnt(7)
	ds_load_u16_d16_hi v81, v240 offset:2656
	;; [unrolled: 2-line block ×8, first 2 shown]
	.loc	1 105 30                        ; attention_bwd.py:105:30 @[ attention_bwd.py:240:70 ]
	v_sub_f32_e32 v73, v187, v253
	v_dual_sub_f32 v72, v186, v253 :: v_dual_mov_b32 v231, v167
	v_dual_mov_b32 v230, v166 :: v_dual_mov_b32 v229, v165
	v_dual_mov_b32 v228, v164 :: v_dual_mov_b32 v227, v163
	;; [unrolled: 1-line block ×3, first 2 shown]
	v_mov_b32_e32 v224, v160
	.loc	1 112 24                        ; attention_bwd.py:112:24 @[ attention_bwd.py:240:70 ]
	s_waitcnt lgkmcnt(0)
	v_wmma_f32_16x16x16_f16 v[88:95], v[80:87], v[176:183], v[88:95]
	v_wmma_f32_16x16x16_f16 v[96:103], v[80:87], v[168:175], v[96:103]
	.loc	1 103 21                        ; attention_bwd.py:103:21 @[ attention_bwd.py:240:70 ]
	ds_load_u16 v80, v240 offset:3072
	ds_load_u16 v81, v240 offset:3136
	;; [unrolled: 1-line block ×8, first 2 shown]
	s_waitcnt lgkmcnt(7)
	ds_load_u16_d16_hi v80, v240 offset:3104
	s_waitcnt lgkmcnt(7)
	ds_load_u16_d16_hi v81, v240 offset:3168
	;; [unrolled: 2-line block ×8, first 2 shown]
	.loc	1 112 24                        ; attention_bwd.py:112:24 @[ attention_bwd.py:240:70 ]
	s_waitcnt vmcnt(0) lgkmcnt(0)
	v_wmma_f32_16x16x16_f16 v[88:95], v[80:87], v[64:71], v[88:95]
	s_clause 0x1                            ; 32-byte Folded Reload
	scratch_load_b128 v[64:67], off, off offset:292
	scratch_load_b128 v[68:71], off, off offset:308
	s_waitcnt vmcnt(0)
	v_wmma_f32_16x16x16_f16 v[96:103], v[80:87], v[64:71], v[96:103]
	s_clause 0x1                            ; 32-byte Folded Reload
	scratch_load_b128 v[64:67], off, off offset:260
	scratch_load_b128 v[68:71], off, off offset:276
	.loc	1 103 21                        ; attention_bwd.py:103:21 @[ attention_bwd.py:240:70 ]
	ds_load_u16 v80, v240 offset:3584
	ds_load_u16 v81, v240 offset:3648
	;; [unrolled: 1-line block ×8, first 2 shown]
	s_waitcnt lgkmcnt(7)
	ds_load_u16_d16_hi v80, v240 offset:3616
	s_waitcnt lgkmcnt(7)
	ds_load_u16_d16_hi v81, v240 offset:3680
	;; [unrolled: 2-line block ×8, first 2 shown]
	.loc	1 112 24                        ; attention_bwd.py:112:24 @[ attention_bwd.py:240:70 ]
	s_waitcnt lgkmcnt(0)
	v_wmma_f32_16x16x16_f16 v[96:103], v[80:87], v[160:167], v[96:103]
	s_waitcnt vmcnt(0)
	v_wmma_f32_16x16x16_f16 v[88:95], v[80:87], v[64:71], v[88:95]
	scratch_load_b32 v87, off, off offset:1872 ; 4-byte Folded Reload
	.loc	1 105 30                        ; attention_bwd.py:105:30 @[ attention_bwd.py:240:70 ]
	v_sub_f32_e32 v64, v104, v252
	v_sub_f32_e32 v65, v105, v252
	v_sub_f32_e32 v66, v106, v252
	.loc	1 113 23                        ; attention_bwd.py:113:23 @[ attention_bwd.py:240:70 ]
	v_sub_f32_e32 v86, v93, v130
	v_sub_f32_e32 v80, v88, v130
	.loc	1 105 25                        ; attention_bwd.py:105:25 @[ attention_bwd.py:240:70 ]
	v_exp_f32_e32 v64, v64
	.loc	1 113 23                        ; attention_bwd.py:113:23 @[ attention_bwd.py:240:70 ]
	v_sub_f32_e32 v82, v90, v130
	v_sub_f32_e32 v83, v91, v130
	;; [unrolled: 1-line block ×6, first 2 shown]
	.loc	1 105 25                        ; attention_bwd.py:105:25 @[ attention_bwd.py:240:70 ]
	v_exp_f32_e32 v65, v65
	.loc	1 113 23                        ; attention_bwd.py:113:23 @[ attention_bwd.py:240:70 ]
	v_sub_f32_e32 v81, v89, v130
	v_sub_f32_e32 v89, v94, v130
	v_dual_sub_f32 v94, v98, v131 :: v_dual_sub_f32 v67, v107, v252
	v_sub_f32_e32 v92, v97, v131
	v_sub_f32_e32 v97, v100, v131
	.loc	1 105 30                        ; attention_bwd.py:105:30 @[ attention_bwd.py:240:70 ]
	v_sub_f32_e32 v68, v108, v252
	v_sub_f32_e32 v69, v109, v252
	v_sub_f32_e32 v70, v110, v252
	v_dual_sub_f32 v71, v111, v252 :: v_dual_sub_f32 v98, v101, v131
	.loc	1 108 30                        ; attention_bwd.py:108:30 @[ attention_bwd.py:240:70 ]
	s_waitcnt vmcnt(0)
	v_or_b32_e32 v93, s0, v87
	s_delay_alu instid0(VALU_DEP_1) | instskip(SKIP_1) | instid1(VALU_DEP_1)
	.loc	1 110 34                        ; attention_bwd.py:110:34 @[ attention_bwd.py:240:70 ]
	v_cmp_ge_i32_e32 vcc_lo, v239, v93
	v_cndmask_b32_e32 v64, 0, v64, vcc_lo
	.loc	1 114 19                        ; attention_bwd.py:114:19 @[ attention_bwd.py:240:70 ]
	v_fma_mixlo_f16 v84, v64, v80, 0
.Ltmp118:
	.loc	1 171 58                        ; attention_bwd.py:171:58
	v_or_b32_e32 v64, s0, v87
	s_delay_alu instid0(VALU_DEP_1) | instskip(NEXT) | instid1(VALU_DEP_1)
.Ltmp119:
	.loc	1 108 30                        ; attention_bwd.py:108:30 @[ attention_bwd.py:240:70 ]
	v_or_b32_e32 v80, 2, v64
	.loc	1 110 34                        ; attention_bwd.py:110:34 @[ attention_bwd.py:240:70 ]
	v_cmp_ge_i32_e32 vcc_lo, v239, v80
	.loc	1 113 23                        ; attention_bwd.py:113:23 @[ attention_bwd.py:240:70 ]
	v_dual_sub_f32 v90, v95, v130 :: v_dual_cndmask_b32 v65, 0, v65
	s_delay_alu instid0(VALU_DEP_1) | instskip(SKIP_3) | instid1(VALU_DEP_2)
	.loc	1 114 19                        ; attention_bwd.py:114:19 @[ attention_bwd.py:240:70 ]
	v_fma_mixhi_f16 v84, v65, v81, 0
	.loc	1 105 25                        ; attention_bwd.py:105:25 @[ attention_bwd.py:240:70 ]
	v_exp_f32_e32 v65, v66
	.loc	1 108 30                        ; attention_bwd.py:108:30 @[ attention_bwd.py:240:70 ]
	v_or_b32_e32 v66, 4, v64
	v_mov_b32_e32 v81, 0
	.loc	1 110 34                        ; attention_bwd.py:110:34 @[ attention_bwd.py:240:70 ]
	v_cmp_ge_i32_e32 vcc_lo, v239, v66
	.loc	1 113 23                        ; attention_bwd.py:113:23 @[ attention_bwd.py:240:70 ]
	s_waitcnt_depctr depctr_va_vdst(0)
	v_dual_sub_f32 v100, v103, v131 :: v_dual_cndmask_b32 v65, 0, v65
	s_delay_alu instid0(VALU_DEP_1) | instskip(SKIP_2) | instid1(VALU_DEP_1)
	.loc	1 114 19                        ; attention_bwd.py:114:19 @[ attention_bwd.py:240:70 ]
	v_fma_mixlo_f16 v87, v65, v82, 0
	.loc	1 105 25                        ; attention_bwd.py:105:25 @[ attention_bwd.py:240:70 ]
	v_exp_f32_e32 v65, v67
	.loc	1 108 30                        ; attention_bwd.py:108:30 @[ attention_bwd.py:240:70 ]
	v_or_b32_e32 v67, 6, v64
	.loc	1 110 34                        ; attention_bwd.py:110:34 @[ attention_bwd.py:240:70 ]
	v_cmp_ge_i32_e32 vcc_lo, v239, v67
	s_waitcnt_depctr depctr_va_vdst(0)
	v_cndmask_b32_e32 v65, 0, v65, vcc_lo
	s_delay_alu instid0(VALU_DEP_1) | instskip(SKIP_2) | instid1(VALU_DEP_1)
	.loc	1 114 19                        ; attention_bwd.py:114:19 @[ attention_bwd.py:240:70 ]
	v_fma_mixhi_f16 v87, v65, v83, 0
	.loc	1 105 25                        ; attention_bwd.py:105:25 @[ attention_bwd.py:240:70 ]
	v_exp_f32_e32 v65, v68
	.loc	1 108 30                        ; attention_bwd.py:108:30 @[ attention_bwd.py:240:70 ]
	v_or_b32_e32 v68, 8, v64
	.loc	1 110 34                        ; attention_bwd.py:110:34 @[ attention_bwd.py:240:70 ]
	v_cmp_ge_i32_e32 vcc_lo, v239, v68
	s_waitcnt_depctr depctr_va_vdst(0)
	v_cndmask_b32_e32 v65, 0, v65, vcc_lo
	s_delay_alu instid0(VALU_DEP_1) | instskip(SKIP_2) | instid1(VALU_DEP_1)
	.loc	1 114 19                        ; attention_bwd.py:114:19 @[ attention_bwd.py:240:70 ]
	v_fma_mixlo_f16 v88, v65, v85, 0
	.loc	1 105 25                        ; attention_bwd.py:105:25 @[ attention_bwd.py:240:70 ]
	v_exp_f32_e32 v65, v69
	.loc	1 108 30                        ; attention_bwd.py:108:30 @[ attention_bwd.py:240:70 ]
	v_or_b32_e32 v69, 10, v64
	.loc	1 110 34                        ; attention_bwd.py:110:34 @[ attention_bwd.py:240:70 ]
	v_cmp_ge_i32_e32 vcc_lo, v239, v69
	s_waitcnt_depctr depctr_va_vdst(0)
	v_cndmask_b32_e32 v65, 0, v65, vcc_lo
	s_delay_alu instid0(VALU_DEP_1) | instskip(SKIP_3) | instid1(VALU_DEP_2)
	.loc	1 114 19                        ; attention_bwd.py:114:19 @[ attention_bwd.py:240:70 ]
	v_fma_mixhi_f16 v88, v65, v86, 0
	.loc	1 105 25                        ; attention_bwd.py:105:25 @[ attention_bwd.py:240:70 ]
	v_exp_f32_e32 v65, v70
	.loc	1 108 30                        ; attention_bwd.py:108:30 @[ attention_bwd.py:240:70 ]
	v_or_b32_e32 v70, 12, v64
	v_or_b32_e32 v64, 14, v64
	.loc	1 110 34                        ; attention_bwd.py:110:34 @[ attention_bwd.py:240:70 ]
	v_cmp_ge_i32_e32 vcc_lo, v239, v70
	v_cmp_ge_i32_e64 s0, v250, v70
	s_waitcnt_depctr depctr_va_vdst(0)
	v_cndmask_b32_e32 v65, 0, v65, vcc_lo
	v_cmp_ge_i32_e32 vcc_lo, v239, v64
	s_delay_alu instid0(VALU_DEP_2) | instskip(SKIP_4) | instid1(VALU_DEP_2)
	.loc	1 114 19                        ; attention_bwd.py:114:19 @[ attention_bwd.py:240:70 ]
	v_fma_mixlo_f16 v89, v65, v89, 0
	.loc	1 105 25                        ; attention_bwd.py:105:25 @[ attention_bwd.py:240:70 ]
	v_exp_f32_e32 v65, v71
	.loc	1 110 34                        ; attention_bwd.py:110:34 @[ attention_bwd.py:240:70 ]
	s_waitcnt_depctr depctr_va_vdst(0)
	v_cndmask_b32_e32 v65, 0, v65, vcc_lo
	v_cmp_ge_i32_e32 vcc_lo, v250, v93
	.loc	1 114 19                        ; attention_bwd.py:114:19 @[ attention_bwd.py:240:70 ]
	v_fma_mixhi_f16 v89, v65, v90, 0
	.loc	1 105 25                        ; attention_bwd.py:105:25 @[ attention_bwd.py:240:70 ]
	v_exp_f32_e32 v65, v72
	.loc	1 110 34                        ; attention_bwd.py:110:34 @[ attention_bwd.py:240:70 ]
	s_waitcnt_depctr depctr_va_vdst(0)
	v_cndmask_b32_e32 v65, 0, v65, vcc_lo
	v_cmp_ge_i32_e32 vcc_lo, v250, v80
	v_mov_b32_e32 v80, 0
	s_delay_alu instid0(VALU_DEP_3) | instskip(SKIP_4) | instid1(VALU_DEP_2)
	.loc	1 114 19                        ; attention_bwd.py:114:19 @[ attention_bwd.py:240:70 ]
	v_fma_mixlo_f16 v93, v65, v91, 0
	.loc	1 105 25                        ; attention_bwd.py:105:25 @[ attention_bwd.py:240:70 ]
	v_exp_f32_e32 v65, v73
	.loc	1 110 34                        ; attention_bwd.py:110:34 @[ attention_bwd.py:240:70 ]
	s_waitcnt_depctr depctr_va_vdst(0)
	v_cndmask_b32_e32 v65, 0, v65, vcc_lo
	v_cmp_ge_i32_e32 vcc_lo, v250, v66
	.loc	1 114 19                        ; attention_bwd.py:114:19 @[ attention_bwd.py:240:70 ]
	v_fma_mixhi_f16 v93, v65, v92, 0
	.loc	1 105 25                        ; attention_bwd.py:105:25 @[ attention_bwd.py:240:70 ]
	v_exp_f32_e32 v65, v74
	.loc	1 110 34                        ; attention_bwd.py:110:34 @[ attention_bwd.py:240:70 ]
	s_waitcnt_depctr depctr_va_vdst(0)
	v_cndmask_b32_e32 v65, 0, v65, vcc_lo
	v_cmp_ge_i32_e32 vcc_lo, v250, v67
	s_delay_alu instid0(VALU_DEP_2) | instskip(SKIP_4) | instid1(VALU_DEP_2)
	.loc	1 114 19                        ; attention_bwd.py:114:19 @[ attention_bwd.py:240:70 ]
	v_fma_mixlo_f16 v95, v65, v94, 0
	.loc	1 105 25                        ; attention_bwd.py:105:25 @[ attention_bwd.py:240:70 ]
	v_exp_f32_e32 v65, v75
	.loc	1 110 34                        ; attention_bwd.py:110:34 @[ attention_bwd.py:240:70 ]
	s_waitcnt_depctr depctr_va_vdst(0)
	v_cndmask_b32_e32 v65, 0, v65, vcc_lo
	v_cmp_ge_i32_e32 vcc_lo, v250, v68
	.loc	1 114 19                        ; attention_bwd.py:114:19 @[ attention_bwd.py:240:70 ]
	v_fma_mixhi_f16 v95, v65, v96, 0
	.loc	1 105 25                        ; attention_bwd.py:105:25 @[ attention_bwd.py:240:70 ]
	v_exp_f32_e32 v65, v76
	.loc	1 110 34                        ; attention_bwd.py:110:34 @[ attention_bwd.py:240:70 ]
	s_waitcnt_depctr depctr_va_vdst(0)
	v_cndmask_b32_e32 v65, 0, v65, vcc_lo
	v_cmp_ge_i32_e32 vcc_lo, v250, v69
	s_delay_alu instid0(VALU_DEP_2)
	.loc	1 114 19                        ; attention_bwd.py:114:19 @[ attention_bwd.py:240:70 ]
	v_fma_mixlo_f16 v96, v65, v97, 0
	.loc	1 105 25                        ; attention_bwd.py:105:25 @[ attention_bwd.py:240:70 ]
	v_exp_f32_e32 v65, v77
	.loc	1 110 34                        ; attention_bwd.py:110:34 @[ attention_bwd.py:240:70 ]
	s_waitcnt_depctr depctr_va_vdst(0)
	v_cndmask_b32_e32 v65, 0, v65, vcc_lo
	v_cmp_ge_i32_e32 vcc_lo, v250, v64
	.loc	1 105 25                        ; attention_bwd.py:105:25 @[ attention_bwd.py:240:70 ]
	v_exp_f32_e32 v64, v78
	s_delay_alu instid0(VALU_DEP_2) | instskip(SKIP_4) | instid1(SALU_CYCLE_1)
	.loc	1 114 19                        ; attention_bwd.py:114:19 @[ attention_bwd.py:240:70 ]
	v_fma_mixhi_f16 v96, v65, v98, 0
	.loc	1 105 25                        ; attention_bwd.py:105:25 @[ attention_bwd.py:240:70 ]
	v_exp_f32_e32 v65, v79
	.loc	1 110 34                        ; attention_bwd.py:110:34 @[ attention_bwd.py:240:70 ]
	s_waitcnt_depctr depctr_va_vdst(0)
	v_cndmask_b32_e64 v64, 0, v64, s0
	s_mov_b32 s0, 0x76543210
	.loc	1 114 19                        ; attention_bwd.py:114:19 @[ attention_bwd.py:240:70 ]
	v_permlanex16_b32 v109, v84, s0, 0xfedcba98 op_sel:[1,0]
	v_permlanex16_b32 v108, v87, s0, 0xfedcba98 op_sel:[1,0]
	s_delay_alu instid0(VALU_DEP_3)
	v_fma_mixlo_f16 v97, v64, v99, 0
	.loc	1 110 34                        ; attention_bwd.py:110:34 @[ attention_bwd.py:240:70 ]
	v_cndmask_b32_e32 v64, 0, v65, vcc_lo
	.loc	1 114 19                        ; attention_bwd.py:114:19 @[ attention_bwd.py:240:70 ]
	v_permlanex16_b32 v107, v88, s0, 0xfedcba98 op_sel:[1,0]
	v_permlanex16_b32 v106, v89, s0, 0xfedcba98 op_sel:[1,0]
	;; [unrolled: 1-line block ×4, first 2 shown]
	v_fma_mixhi_f16 v97, v64, v100, 0
.Ltmp120:
	.loc	1 93 36                         ; attention_bwd.py:93:36 @[ attention_bwd.py:253:40 ]
	scratch_load_b32 v64, off, off offset:2556 ; 4-byte Folded Reload
.Ltmp121:
	.loc	1 114 19                        ; attention_bwd.py:114:19 @[ attention_bwd.py:240:70 ]
	v_permlanex16_b32 v103, v96, s0, 0xfedcba98 op_sel:[1,0]
	v_permlanex16_b32 v102, v97, s0, 0xfedcba98 op_sel:[1,0]
.Ltmp122:
	.loc	1 93 36                         ; attention_bwd.py:93:36 @[ attention_bwd.py:253:40 ]
	s_waitcnt vmcnt(0)
	v_mul_lo_u32 v64, s10, v64
	s_delay_alu instid0(VALU_DEP_1) | instskip(NEXT) | instid1(VALU_DEP_1)
	.loc	1 93 18 is_stmt 0               ; attention_bwd.py:93:18 @[ attention_bwd.py:253:40 ]
	v_ashrrev_i32_e32 v65, 31, v64
	v_lshlrev_b64 v[248:249], 1, v[64:65]
	s_delay_alu instid0(VALU_DEP_1) | instskip(NEXT) | instid1(VALU_DEP_1)
	v_add_co_u32 v128, vcc_lo, s40, v248
	v_add_co_ci_u32_e64 v74, null, s42, v249, vcc_lo
	.loc	1 102 21 is_stmt 1              ; attention_bwd.py:102:21 @[ attention_bwd.py:253:40 ]
	s_cbranch_scc1 .LBB0_146
; %bb.145:
	.loc	1 93 49                         ; attention_bwd.py:93:49 @[ attention_bwd.py:253:40 ]
	v_add_co_u32 v64, vcc_lo, v128, v112
	s_delay_alu instid0(VALU_DEP_1)
	v_add_co_ci_u32_e64 v65, null, v74, v113, vcc_lo
	.loc	1 102 21                        ; attention_bwd.py:102:21 @[ attention_bwd.py:253:40 ]
	global_load_u16 v81, v[64:65], off
.LBB0_146:
	.loc	1 0 21 is_stmt 0                ; attention_bwd.py:0:21
	s_clause 0x5                            ; 48-byte Folded Reload
	scratch_load_b64 v[114:115], off, off offset:2276
	scratch_load_b64 v[116:117], off, off offset:2284
	;; [unrolled: 1-line block ×6, first 2 shown]
	.loc	1 102 21                        ; attention_bwd.py:102:21 @[ attention_bwd.py:253:40 ]
	v_cndmask_b32_e64 v64, 0, 1, s3
	s_and_not1_b32 vcc_lo, exec_lo, s3
	s_delay_alu instid0(VALU_DEP_1)
	v_cmp_ne_u32_e64 s0, 1, v64
	s_cbranch_vccnz .LBB0_148
; %bb.147:
	.loc	1 93 49 is_stmt 1               ; attention_bwd.py:93:49 @[ attention_bwd.py:253:40 ]
	s_waitcnt vmcnt(5)
	v_add_co_u32 v64, vcc_lo, v128, v114
	s_delay_alu instid0(VALU_DEP_1)
	v_add_co_ci_u32_e64 v65, null, v74, v115, vcc_lo
	.loc	1 102 21                        ; attention_bwd.py:102:21 @[ attention_bwd.py:253:40 ]
	global_load_u16 v80, v[64:65], off
.LBB0_148:
	.loc	1 0 21 is_stmt 0                ; attention_bwd.py:0:21
	v_dual_mov_b32 v82, 0 :: v_dual_mov_b32 v83, 0
	.loc	1 102 21                        ; attention_bwd.py:102:21 @[ attention_bwd.py:253:40 ]
	s_and_b32 vcc_lo, exec_lo, s0
	s_cbranch_vccnz .LBB0_150
; %bb.149:
	.loc	1 93 49 is_stmt 1               ; attention_bwd.py:93:49 @[ attention_bwd.py:253:40 ]
	s_waitcnt vmcnt(4)
	v_add_co_u32 v64, vcc_lo, v128, v116
	s_delay_alu instid0(VALU_DEP_1)
	v_add_co_ci_u32_e64 v65, null, v74, v117, vcc_lo
	.loc	1 102 21                        ; attention_bwd.py:102:21 @[ attention_bwd.py:253:40 ]
	global_load_u16 v83, v[64:65], off
.LBB0_150:
	s_and_b32 vcc_lo, exec_lo, s0
	s_cbranch_vccnz .LBB0_152
; %bb.151:
	.loc	1 93 49                         ; attention_bwd.py:93:49 @[ attention_bwd.py:253:40 ]
	s_waitcnt vmcnt(3)
	v_add_co_u32 v64, vcc_lo, v128, v118
	s_delay_alu instid0(VALU_DEP_1)
	v_add_co_ci_u32_e64 v65, null, v74, v119, vcc_lo
	.loc	1 102 21                        ; attention_bwd.py:102:21 @[ attention_bwd.py:253:40 ]
	global_load_u16 v82, v[64:65], off
.LBB0_152:
	.loc	1 0 21 is_stmt 0                ; attention_bwd.py:0:21
	v_dual_mov_b32 v85, 0 :: v_dual_mov_b32 v86, 0
	.loc	1 102 21                        ; attention_bwd.py:102:21 @[ attention_bwd.py:253:40 ]
	s_and_b32 vcc_lo, exec_lo, s0
	s_cbranch_vccnz .LBB0_154
; %bb.153:
	.loc	1 93 49 is_stmt 1               ; attention_bwd.py:93:49 @[ attention_bwd.py:253:40 ]
	s_waitcnt vmcnt(2)
	v_add_co_u32 v64, vcc_lo, v128, v120
	s_delay_alu instid0(VALU_DEP_1)
	v_add_co_ci_u32_e64 v65, null, v74, v121, vcc_lo
	.loc	1 102 21                        ; attention_bwd.py:102:21 @[ attention_bwd.py:253:40 ]
	global_load_u16 v86, v[64:65], off
.LBB0_154:
	s_and_b32 vcc_lo, exec_lo, s0
	s_cbranch_vccnz .LBB0_156
; %bb.155:
	.loc	1 93 49                         ; attention_bwd.py:93:49 @[ attention_bwd.py:253:40 ]
	s_waitcnt vmcnt(1)
	v_add_co_u32 v64, vcc_lo, v128, v122
	s_delay_alu instid0(VALU_DEP_1)
	v_add_co_ci_u32_e64 v65, null, v74, v123, vcc_lo
	.loc	1 102 21                        ; attention_bwd.py:102:21 @[ attention_bwd.py:253:40 ]
	global_load_u16 v85, v[64:65], off
.LBB0_156:
	.loc	1 0 21 is_stmt 0                ; attention_bwd.py:0:21
	v_dual_mov_b32 v90, 0 :: v_dual_mov_b32 v91, 0
	.loc	1 102 21                        ; attention_bwd.py:102:21 @[ attention_bwd.py:253:40 ]
	s_and_b32 vcc_lo, exec_lo, s0
	s_cbranch_vccnz .LBB0_158
; %bb.157:
	.loc	1 93 49 is_stmt 1               ; attention_bwd.py:93:49 @[ attention_bwd.py:253:40 ]
	s_waitcnt vmcnt(0)
	v_add_co_u32 v64, vcc_lo, v128, v124
	s_delay_alu instid0(VALU_DEP_1)
	v_add_co_ci_u32_e64 v65, null, v74, v125, vcc_lo
	.loc	1 102 21                        ; attention_bwd.py:102:21 @[ attention_bwd.py:253:40 ]
	global_load_u16 v91, v[64:65], off
.LBB0_158:
	s_and_b32 vcc_lo, exec_lo, s0
	s_cbranch_vccnz .LBB0_160
; %bb.159:
	.loc	1 0 21 is_stmt 0                ; attention_bwd.py:0:21
	scratch_load_b64 v[64:65], off, off offset:1644 ; 8-byte Folded Reload
	.loc	1 93 49 is_stmt 1               ; attention_bwd.py:93:49 @[ attention_bwd.py:253:40 ]
	s_waitcnt vmcnt(0)
	v_add_co_u32 v64, vcc_lo, v128, v64
	s_delay_alu instid0(VALU_DEP_1)
	v_add_co_ci_u32_e64 v65, null, v74, v65, vcc_lo
	.loc	1 102 21                        ; attention_bwd.py:102:21 @[ attention_bwd.py:253:40 ]
	global_load_u16 v90, v[64:65], off
.LBB0_160:
	.loc	1 0 21 is_stmt 0                ; attention_bwd.py:0:21
	v_mov_b32_e32 v92, 0
	v_mov_b32_e32 v94, 0
	.loc	1 102 21                        ; attention_bwd.py:102:21 @[ attention_bwd.py:253:40 ]
	s_and_b32 vcc_lo, exec_lo, s0
	s_cbranch_vccnz .LBB0_162
; %bb.161:
	.loc	1 0 21                          ; attention_bwd.py:0:21
	scratch_load_b64 v[64:65], off, off offset:1652 ; 8-byte Folded Reload
	.loc	1 93 49 is_stmt 1               ; attention_bwd.py:93:49 @[ attention_bwd.py:253:40 ]
	s_waitcnt vmcnt(0)
	v_add_co_u32 v64, vcc_lo, v128, v64
	s_delay_alu instid0(VALU_DEP_1)
	v_add_co_ci_u32_e64 v65, null, v74, v65, vcc_lo
	.loc	1 102 21                        ; attention_bwd.py:102:21 @[ attention_bwd.py:253:40 ]
	global_load_u16 v94, v[64:65], off
.LBB0_162:
	s_and_b32 vcc_lo, exec_lo, s0
	s_cbranch_vccnz .LBB0_164
; %bb.163:
	.loc	1 0 21 is_stmt 0                ; attention_bwd.py:0:21
	scratch_load_b64 v[64:65], off, off offset:1660 ; 8-byte Folded Reload
	.loc	1 93 49 is_stmt 1               ; attention_bwd.py:93:49 @[ attention_bwd.py:253:40 ]
	s_waitcnt vmcnt(0)
	v_add_co_u32 v64, vcc_lo, v128, v64
	s_delay_alu instid0(VALU_DEP_1)
	v_add_co_ci_u32_e64 v65, null, v74, v65, vcc_lo
	.loc	1 102 21                        ; attention_bwd.py:102:21 @[ attention_bwd.py:253:40 ]
	global_load_u16 v92, v[64:65], off
.LBB0_164:
	.loc	1 0 21 is_stmt 0                ; attention_bwd.py:0:21
	v_dual_mov_b32 v98, 0 :: v_dual_mov_b32 v99, 0
	.loc	1 102 21                        ; attention_bwd.py:102:21 @[ attention_bwd.py:253:40 ]
	s_and_b32 vcc_lo, exec_lo, s0
	s_cbranch_vccnz .LBB0_166
; %bb.165:
	.loc	1 0 21                          ; attention_bwd.py:0:21
	scratch_load_b64 v[64:65], off, off offset:1668 ; 8-byte Folded Reload
	.loc	1 93 49 is_stmt 1               ; attention_bwd.py:93:49 @[ attention_bwd.py:253:40 ]
	s_waitcnt vmcnt(0)
	v_add_co_u32 v64, vcc_lo, v128, v64
	s_delay_alu instid0(VALU_DEP_1)
	v_add_co_ci_u32_e64 v65, null, v74, v65, vcc_lo
	.loc	1 102 21                        ; attention_bwd.py:102:21 @[ attention_bwd.py:253:40 ]
	global_load_u16 v99, v[64:65], off
.LBB0_166:
	s_and_b32 vcc_lo, exec_lo, s0
	s_cbranch_vccnz .LBB0_168
; %bb.167:
	.loc	1 0 21 is_stmt 0                ; attention_bwd.py:0:21
	scratch_load_b64 v[64:65], off, off offset:1676 ; 8-byte Folded Reload
	.loc	1 93 49 is_stmt 1               ; attention_bwd.py:93:49 @[ attention_bwd.py:253:40 ]
	s_waitcnt vmcnt(0)
	v_add_co_u32 v64, vcc_lo, v128, v64
	s_delay_alu instid0(VALU_DEP_1)
	v_add_co_ci_u32_e64 v65, null, v74, v65, vcc_lo
	.loc	1 102 21                        ; attention_bwd.py:102:21 @[ attention_bwd.py:253:40 ]
	global_load_u16 v98, v[64:65], off
.LBB0_168:
	.loc	1 0 21 is_stmt 0                ; attention_bwd.py:0:21
	v_dual_mov_b32 v100, 0 :: v_dual_mov_b32 v101, 0
	;; [unrolled: 29-line block ×3, first 2 shown]
	.loc	1 102 21                        ; attention_bwd.py:102:21 @[ attention_bwd.py:253:40 ]
	s_and_b32 vcc_lo, exec_lo, s0
	s_cbranch_vccnz .LBB0_174
; %bb.173:
	.loc	1 0 21                          ; attention_bwd.py:0:21
	scratch_load_b64 v[64:65], off, off offset:1700 ; 8-byte Folded Reload
	.loc	1 93 49 is_stmt 1               ; attention_bwd.py:93:49 @[ attention_bwd.py:253:40 ]
	s_waitcnt vmcnt(0)
	v_add_co_u32 v64, vcc_lo, v128, v64
	s_delay_alu instid0(VALU_DEP_1)
	v_add_co_ci_u32_e64 v65, null, v74, v65, vcc_lo
	.loc	1 102 21                        ; attention_bwd.py:102:21 @[ attention_bwd.py:253:40 ]
	global_load_u16 v111, v[64:65], off
.LBB0_174:
	s_and_b32 vcc_lo, exec_lo, s0
	s_cbranch_vccnz .LBB0_176
; %bb.175:
	.loc	1 0 21 is_stmt 0                ; attention_bwd.py:0:21
	scratch_load_b64 v[64:65], off, off offset:1708 ; 8-byte Folded Reload
	.loc	1 93 49 is_stmt 1               ; attention_bwd.py:93:49 @[ attention_bwd.py:253:40 ]
	s_waitcnt vmcnt(0)
	v_add_co_u32 v64, vcc_lo, v128, v64
	s_delay_alu instid0(VALU_DEP_1)
	v_add_co_ci_u32_e64 v65, null, v74, v65, vcc_lo
	.loc	1 102 21                        ; attention_bwd.py:102:21 @[ attention_bwd.py:253:40 ]
	global_load_u16 v110, v[64:65], off
.LBB0_176:
	.loc	1 94 18                         ; attention_bwd.py:94:18 @[ attention_bwd.py:253:40 ]
	v_add_co_u32 v187, vcc_lo, s15, v248
	s_delay_alu instid0(VALU_DEP_1)
	v_add_co_ci_u32_e64 v188, null, s33, v249, vcc_lo
	v_mov_b32_e32 v128, 0
	v_mov_b32_e32 v74, 0
	.loc	1 103 21                        ; attention_bwd.py:103:21 @[ attention_bwd.py:253:40 ]
	s_and_b32 vcc_lo, exec_lo, s0
	s_cbranch_vccnz .LBB0_178
; %bb.177:
	.loc	1 94 49                         ; attention_bwd.py:94:49 @[ attention_bwd.py:253:40 ]
	v_add_co_u32 v64, vcc_lo, v187, v112
	s_delay_alu instid0(VALU_DEP_1)
	v_add_co_ci_u32_e64 v65, null, v188, v113, vcc_lo
	.loc	1 103 21                        ; attention_bwd.py:103:21 @[ attention_bwd.py:253:40 ]
	global_load_u16 v74, v[64:65], off
.LBB0_178:
	s_and_b32 vcc_lo, exec_lo, s0
	s_cbranch_vccnz .LBB0_180
; %bb.179:
	.loc	1 94 49                         ; attention_bwd.py:94:49 @[ attention_bwd.py:253:40 ]
	s_waitcnt vmcnt(5)
	v_add_co_u32 v64, vcc_lo, v187, v114
	s_delay_alu instid0(VALU_DEP_1)
	v_add_co_ci_u32_e64 v65, null, v188, v115, vcc_lo
	.loc	1 103 21                        ; attention_bwd.py:103:21 @[ attention_bwd.py:253:40 ]
	global_load_u16 v128, v[64:65], off
.LBB0_180:
	.loc	1 0 21 is_stmt 0                ; attention_bwd.py:0:21
	v_dual_mov_b32 v132, 0 :: v_dual_mov_b32 v133, 0
	.loc	1 103 21                        ; attention_bwd.py:103:21 @[ attention_bwd.py:253:40 ]
	s_and_b32 vcc_lo, exec_lo, s0
	s_cbranch_vccnz .LBB0_182
; %bb.181:
	.loc	1 94 49 is_stmt 1               ; attention_bwd.py:94:49 @[ attention_bwd.py:253:40 ]
	s_waitcnt vmcnt(4)
	v_add_co_u32 v64, vcc_lo, v187, v116
	s_delay_alu instid0(VALU_DEP_1)
	v_add_co_ci_u32_e64 v65, null, v188, v117, vcc_lo
	.loc	1 103 21                        ; attention_bwd.py:103:21 @[ attention_bwd.py:253:40 ]
	global_load_u16 v133, v[64:65], off
.LBB0_182:
	s_and_b32 vcc_lo, exec_lo, s0
	s_cbranch_vccnz .LBB0_184
; %bb.183:
	.loc	1 94 49                         ; attention_bwd.py:94:49 @[ attention_bwd.py:253:40 ]
	s_waitcnt vmcnt(3)
	v_add_co_u32 v64, vcc_lo, v187, v118
	s_delay_alu instid0(VALU_DEP_1)
	v_add_co_ci_u32_e64 v65, null, v188, v119, vcc_lo
	.loc	1 103 21                        ; attention_bwd.py:103:21 @[ attention_bwd.py:253:40 ]
	global_load_u16 v132, v[64:65], off
.LBB0_184:
	.loc	1 0 21 is_stmt 0                ; attention_bwd.py:0:21
	v_dual_mov_b32 v134, 0 :: v_dual_mov_b32 v135, 0
	.loc	1 103 21                        ; attention_bwd.py:103:21 @[ attention_bwd.py:253:40 ]
	s_and_b32 vcc_lo, exec_lo, s0
	s_cbranch_vccnz .LBB0_186
; %bb.185:
	.loc	1 94 49 is_stmt 1               ; attention_bwd.py:94:49 @[ attention_bwd.py:253:40 ]
	s_waitcnt vmcnt(2)
	v_add_co_u32 v64, vcc_lo, v187, v120
	s_delay_alu instid0(VALU_DEP_1)
	v_add_co_ci_u32_e64 v65, null, v188, v121, vcc_lo
	.loc	1 103 21                        ; attention_bwd.py:103:21 @[ attention_bwd.py:253:40 ]
	global_load_u16 v135, v[64:65], off
.LBB0_186:
	s_and_b32 vcc_lo, exec_lo, s0
	s_cbranch_vccnz .LBB0_188
; %bb.187:
	.loc	1 94 49                         ; attention_bwd.py:94:49 @[ attention_bwd.py:253:40 ]
	s_waitcnt vmcnt(1)
	v_add_co_u32 v64, vcc_lo, v187, v122
	s_delay_alu instid0(VALU_DEP_1)
	v_add_co_ci_u32_e64 v65, null, v188, v123, vcc_lo
	.loc	1 103 21                        ; attention_bwd.py:103:21 @[ attention_bwd.py:253:40 ]
	global_load_u16 v134, v[64:65], off
.LBB0_188:
	.loc	1 0 21 is_stmt 0                ; attention_bwd.py:0:21
	v_mov_b32_e32 v184, 0
	v_mov_b32_e32 v186, 0
	.loc	1 103 21                        ; attention_bwd.py:103:21 @[ attention_bwd.py:253:40 ]
	s_and_b32 vcc_lo, exec_lo, s0
	s_cbranch_vccnz .LBB0_190
; %bb.189:
	.loc	1 94 49 is_stmt 1               ; attention_bwd.py:94:49 @[ attention_bwd.py:253:40 ]
	s_waitcnt vmcnt(0)
	v_add_co_u32 v64, vcc_lo, v187, v124
	s_delay_alu instid0(VALU_DEP_1)
	v_add_co_ci_u32_e64 v65, null, v188, v125, vcc_lo
	.loc	1 103 21                        ; attention_bwd.py:103:21 @[ attention_bwd.py:253:40 ]
	global_load_u16 v186, v[64:65], off
.LBB0_190:
	s_and_b32 vcc_lo, exec_lo, s0
	s_cbranch_vccnz .LBB0_192
; %bb.191:
	.loc	1 0 21 is_stmt 0                ; attention_bwd.py:0:21
	scratch_load_b64 v[64:65], off, off offset:1644 ; 8-byte Folded Reload
	.loc	1 94 49 is_stmt 1               ; attention_bwd.py:94:49 @[ attention_bwd.py:253:40 ]
	s_waitcnt vmcnt(0)
	v_add_co_u32 v64, vcc_lo, v187, v64
	s_delay_alu instid0(VALU_DEP_1)
	v_add_co_ci_u32_e64 v65, null, v188, v65, vcc_lo
	.loc	1 103 21                        ; attention_bwd.py:103:21 @[ attention_bwd.py:253:40 ]
	global_load_u16 v184, v[64:65], off
.LBB0_192:
	.loc	1 0 21 is_stmt 0                ; attention_bwd.py:0:21
	v_dual_mov_b32 v189, 0 :: v_dual_mov_b32 v190, 0
	.loc	1 103 21                        ; attention_bwd.py:103:21 @[ attention_bwd.py:253:40 ]
	s_and_b32 vcc_lo, exec_lo, s0
	s_cbranch_vccnz .LBB0_194
; %bb.193:
	.loc	1 0 21                          ; attention_bwd.py:0:21
	scratch_load_b64 v[64:65], off, off offset:1652 ; 8-byte Folded Reload
	.loc	1 94 49 is_stmt 1               ; attention_bwd.py:94:49 @[ attention_bwd.py:253:40 ]
	s_waitcnt vmcnt(0)
	v_add_co_u32 v64, vcc_lo, v187, v64
	s_delay_alu instid0(VALU_DEP_1)
	v_add_co_ci_u32_e64 v65, null, v188, v65, vcc_lo
	.loc	1 103 21                        ; attention_bwd.py:103:21 @[ attention_bwd.py:253:40 ]
	global_load_u16 v190, v[64:65], off
.LBB0_194:
	s_and_b32 vcc_lo, exec_lo, s0
	s_cbranch_vccnz .LBB0_196
; %bb.195:
	.loc	1 0 21 is_stmt 0                ; attention_bwd.py:0:21
	scratch_load_b64 v[64:65], off, off offset:1660 ; 8-byte Folded Reload
	.loc	1 94 49 is_stmt 1               ; attention_bwd.py:94:49 @[ attention_bwd.py:253:40 ]
	s_waitcnt vmcnt(0)
	v_add_co_u32 v64, vcc_lo, v187, v64
	s_delay_alu instid0(VALU_DEP_1)
	v_add_co_ci_u32_e64 v65, null, v188, v65, vcc_lo
	.loc	1 103 21                        ; attention_bwd.py:103:21 @[ attention_bwd.py:253:40 ]
	global_load_u16 v189, v[64:65], off
.LBB0_196:
	.loc	1 0 21 is_stmt 0                ; attention_bwd.py:0:21
	v_mov_b32_e32 v191, 0
	v_mov_b32_e32 v241, 0
	.loc	1 103 21                        ; attention_bwd.py:103:21 @[ attention_bwd.py:253:40 ]
	s_and_b32 vcc_lo, exec_lo, s0
	s_cbranch_vccnz .LBB0_198
; %bb.197:
	.loc	1 0 21                          ; attention_bwd.py:0:21
	scratch_load_b64 v[64:65], off, off offset:1668 ; 8-byte Folded Reload
	.loc	1 94 49 is_stmt 1               ; attention_bwd.py:94:49 @[ attention_bwd.py:253:40 ]
	s_waitcnt vmcnt(0)
	v_add_co_u32 v64, vcc_lo, v187, v64
	s_delay_alu instid0(VALU_DEP_1)
	v_add_co_ci_u32_e64 v65, null, v188, v65, vcc_lo
	.loc	1 103 21                        ; attention_bwd.py:103:21 @[ attention_bwd.py:253:40 ]
	global_load_u16 v241, v[64:65], off
.LBB0_198:
	s_and_b32 vcc_lo, exec_lo, s0
	s_clause 0x1                            ; 32-byte Folded Spill
	scratch_store_b128 off, v[152:155], off offset:420
	scratch_store_b128 off, v[156:159], off offset:436
	s_cbranch_vccnz .LBB0_200
; %bb.199:
	.loc	1 0 21 is_stmt 0                ; attention_bwd.py:0:21
	scratch_load_b64 v[64:65], off, off offset:1676 ; 8-byte Folded Reload
	.loc	1 94 49 is_stmt 1               ; attention_bwd.py:94:49 @[ attention_bwd.py:253:40 ]
	s_waitcnt vmcnt(0)
	v_add_co_u32 v64, vcc_lo, v187, v64
	s_delay_alu instid0(VALU_DEP_1)
	v_add_co_ci_u32_e64 v65, null, v188, v65, vcc_lo
	.loc	1 103 21                        ; attention_bwd.py:103:21 @[ attention_bwd.py:253:40 ]
	global_load_u16 v191, v[64:65], off
.LBB0_200:
	.loc	1 0 21 is_stmt 0                ; attention_bwd.py:0:21
	s_clause 0x1                            ; 32-byte Folded Reload
	scratch_load_b128 v[64:67], off, off offset:356
	scratch_load_b128 v[68:71], off, off offset:372
	ds_load_b128 v[192:195], v126
	ds_load_b128 v[196:199], v126 offset:16
	ds_load_b128 v[200:203], v126 offset:512
	;; [unrolled: 1-line block ×7, first 2 shown]
	v_dual_mov_b32 v152, v224 :: v_dual_mov_b32 v157, v229
	v_dual_mov_b32 v72, 0 :: v_dual_mov_b32 v153, v225
	;; [unrolled: 1-line block ×4, first 2 shown]
	v_mov_b32_e32 v156, v228
	v_mov_b32_e32 v158, v230
	.loc	1 103 21                        ; attention_bwd.py:103:21 @[ attention_bwd.py:253:40 ]
	s_and_b32 vcc_lo, exec_lo, s0
	s_cbranch_vccnz .LBB0_202
; %bb.201:
	.loc	1 0 21                          ; attention_bwd.py:0:21
	scratch_load_b64 v[64:65], off, off offset:1684 ; 8-byte Folded Reload
	.loc	1 94 49 is_stmt 1               ; attention_bwd.py:94:49 @[ attention_bwd.py:253:40 ]
	s_waitcnt vmcnt(0)
	v_add_co_u32 v64, vcc_lo, v187, v64
	s_delay_alu instid0(VALU_DEP_1)
	v_add_co_ci_u32_e64 v65, null, v188, v65, vcc_lo
	.loc	1 103 21                        ; attention_bwd.py:103:21 @[ attention_bwd.py:253:40 ]
	global_load_u16 v242, v[64:65], off
.LBB0_202:
	.loc	1 0 21 is_stmt 0                ; attention_bwd.py:0:21
	v_perm_b32 v224, v109, v84, v129
	v_perm_b32 v225, v109, v84, v254
	;; [unrolled: 1-line block ×16, first 2 shown]
	.loc	1 103 21                        ; attention_bwd.py:103:21 @[ attention_bwd.py:253:40 ]
	s_and_b32 vcc_lo, exec_lo, s0
	s_cbranch_vccnz .LBB0_204
; %bb.203:
	.loc	1 0 21                          ; attention_bwd.py:0:21
	scratch_load_b64 v[64:65], off, off offset:1692 ; 8-byte Folded Reload
	.loc	1 94 49 is_stmt 1               ; attention_bwd.py:94:49 @[ attention_bwd.py:253:40 ]
	s_waitcnt vmcnt(0)
	v_add_co_u32 v64, vcc_lo, v187, v64
	s_delay_alu instid0(VALU_DEP_1)
	v_add_co_ci_u32_e64 v65, null, v188, v65, vcc_lo
	.loc	1 103 21                        ; attention_bwd.py:103:21 @[ attention_bwd.py:253:40 ]
	global_load_u16 v72, v[64:65], off
.LBB0_204:
	.loc	1 0 21 is_stmt 0                ; attention_bwd.py:0:21
	v_dual_mov_b32 v84, 0 :: v_dual_mov_b32 v87, 0
	.loc	1 103 21                        ; attention_bwd.py:103:21 @[ attention_bwd.py:253:40 ]
	s_and_b32 vcc_lo, exec_lo, s0
	s_cbranch_vccnz .LBB0_206
; %bb.205:
	.loc	1 0 21                          ; attention_bwd.py:0:21
	scratch_load_b64 v[64:65], off, off offset:1700 ; 8-byte Folded Reload
	.loc	1 94 49 is_stmt 1               ; attention_bwd.py:94:49 @[ attention_bwd.py:253:40 ]
	s_waitcnt vmcnt(0)
	v_add_co_u32 v64, vcc_lo, v187, v64
	s_delay_alu instid0(VALU_DEP_1)
	v_add_co_ci_u32_e64 v65, null, v188, v65, vcc_lo
	.loc	1 103 21                        ; attention_bwd.py:103:21 @[ attention_bwd.py:253:40 ]
	global_load_u16 v87, v[64:65], off
.LBB0_206:
	.loc	1 0 21 is_stmt 0                ; attention_bwd.py:0:21
	s_waitcnt lgkmcnt(6)
	v_wmma_f32_16x16x16_f16 v[8:15], v[192:199], v[224:231], v[8:15]
	s_waitcnt lgkmcnt(4)
	v_wmma_f32_16x16x16_f16 v[16:23], v[200:207], v[224:231], v[16:23]
	;; [unrolled: 2-line block ×4, first 2 shown]
	v_wmma_f32_16x16x16_f16 v[40:47], v[192:199], v[232:239], v[40:47]
	v_wmma_f32_16x16x16_f16 v[48:55], v[200:207], v[232:239], v[48:55]
	;; [unrolled: 1-line block ×4, first 2 shown]
	.loc	1 103 21                        ; attention_bwd.py:103:21 @[ attention_bwd.py:253:40 ]
	s_and_b32 vcc_lo, exec_lo, s0
	s_cbranch_vccnz .LBB0_208
; %bb.207:
	.loc	1 0 21                          ; attention_bwd.py:0:21
	scratch_load_b64 v[64:65], off, off offset:1708 ; 8-byte Folded Reload
	.loc	1 94 49 is_stmt 1               ; attention_bwd.py:94:49 @[ attention_bwd.py:253:40 ]
	s_waitcnt vmcnt(0)
	v_add_co_u32 v64, vcc_lo, v187, v64
	s_delay_alu instid0(VALU_DEP_1)
	v_add_co_ci_u32_e64 v65, null, v188, v65, vcc_lo
	.loc	1 103 21                        ; attention_bwd.py:103:21 @[ attention_bwd.py:253:40 ]
	global_load_u16 v84, v[64:65], off
.LBB0_208:
	.loc	1 101 25                        ; attention_bwd.py:101:25 @[ attention_bwd.py:253:40 ]
	s_cmp_lt_i32 s1, 2
	.loc	1 102 21                        ; attention_bwd.py:102:21 @[ attention_bwd.py:253:40 ]
	s_waitcnt vmcnt(0)
	s_waitcnt_vscnt null, 0x0
	s_barrier
	buffer_gl0_inv
	ds_store_b16 v255, v81
	ds_store_b16 v255, v80 offset:256
	ds_store_b16 v255, v83 offset:512
	;; [unrolled: 1-line block ×15, first 2 shown]
	.loc	1 103 21                        ; attention_bwd.py:103:21 @[ attention_bwd.py:253:40 ]
	ds_store_b16 v255, v74 offset:4096
	ds_store_b16 v255, v128 offset:4352
	;; [unrolled: 1-line block ×16, first 2 shown]
	.loc	1 101 25                        ; attention_bwd.py:101:25 @[ attention_bwd.py:253:40 ]
	s_cbranch_scc1 .LBB0_212
; %bb.209:                              ; %.lr.ph1652
	.loc	1 0 25 is_stmt 0                ; attention_bwd.py:0:25
	s_clause 0x8                            ; 72-byte Folded Reload
	scratch_load_b64 v[64:65], off, off offset:1708
	scratch_load_b64 v[66:67], off, off offset:1700
	;; [unrolled: 1-line block ×9, first 2 shown]
	s_ashr_i32 s3, s2, 31
	v_dual_mov_b32 v167, v55 :: v_dual_mov_b32 v166, v54
	.loc	1 101 25                        ; attention_bwd.py:101:25 @[ attention_bwd.py:253:40 ]
	s_lshl_b64 s[2:3], s[2:3], 1
	v_dual_mov_b32 v165, v53 :: v_dual_mov_b32 v164, v52
	v_dual_mov_b32 v163, v51 :: v_dual_mov_b32 v162, v50
	;; [unrolled: 1-line block ×3, first 2 shown]
	s_clause 0x7                            ; 128-byte Folded Spill
	scratch_store_b128 off, v[152:155], off offset:1464
	scratch_store_b128 off, v[156:159], off offset:1480
	;; [unrolled: 1-line block ×8, first 2 shown]
	v_dual_mov_b32 v191, v63 :: v_dual_mov_b32 v190, v62
	v_dual_mov_b32 v189, v61 :: v_dual_mov_b32 v188, v60
	;; [unrolled: 1-line block ×4, first 2 shown]
	s_mov_b32 s4, 0
	s_add_i32 s1, s1, -1
	s_mov_b32 s5, s4
	s_mov_b32 s6, s4
	;; [unrolled: 1-line block ×8, first 2 shown]
	s_clause 0x2                            ; 36-byte Folded Spill
	scratch_store_b128 off, v[8:11], off offset:452
	scratch_store_b128 off, v[12:15], off offset:468
	scratch_store_b32 off, v254, off offset:1496
	s_waitcnt vmcnt(8)
	v_add_co_u32 v64, vcc_lo, v64, v248
	s_delay_alu instid0(VALU_DEP_1) | instskip(SKIP_2) | instid1(VALU_DEP_1)
	v_add_co_ci_u32_e64 v65, null, v65, v249, vcc_lo
	s_waitcnt vmcnt(7)
	v_add_co_u32 v66, vcc_lo, v66, v248
	v_add_co_ci_u32_e64 v67, null, v67, v249, vcc_lo
	v_add_co_u32 v64, vcc_lo, v64, s2
	s_delay_alu instid0(VALU_DEP_1) | instskip(NEXT) | instid1(VALU_DEP_4)
	v_add_co_ci_u32_e64 v65, null, s3, v65, vcc_lo
	v_add_co_u32 v66, vcc_lo, v66, s2
	s_delay_alu instid0(VALU_DEP_1) | instskip(NEXT) | instid1(VALU_DEP_4)
	;; [unrolled: 3-line block ×3, first 2 shown]
	v_add_co_ci_u32_e64 v144, null, s35, v65, vcc_lo
	v_add_co_u32 v99, vcc_lo, s34, v66
	s_delay_alu instid0(VALU_DEP_1) | instskip(SKIP_2) | instid1(VALU_DEP_1)
	v_add_co_ci_u32_e64 v100, null, s35, v67, vcc_lo
	s_waitcnt vmcnt(6)
	v_add_co_u32 v68, vcc_lo, v68, v248
	v_add_co_ci_u32_e64 v69, null, v69, v249, vcc_lo
	s_waitcnt vmcnt(5)
	v_add_co_u32 v70, vcc_lo, v70, v248
	s_delay_alu instid0(VALU_DEP_1) | instskip(SKIP_1) | instid1(VALU_DEP_1)
	v_add_co_ci_u32_e64 v71, null, v71, v249, vcc_lo
	v_add_co_u32 v68, vcc_lo, v68, s2
	v_add_co_ci_u32_e64 v69, null, s3, v69, vcc_lo
	s_delay_alu instid0(VALU_DEP_4) | instskip(NEXT) | instid1(VALU_DEP_1)
	v_add_co_u32 v70, vcc_lo, v70, s2
	v_add_co_ci_u32_e64 v71, null, s3, v71, vcc_lo
	s_delay_alu instid0(VALU_DEP_4) | instskip(NEXT) | instid1(VALU_DEP_1)
	;; [unrolled: 3-line block ×3, first 2 shown]
	v_add_co_u32 v103, vcc_lo, s34, v70
	v_add_co_ci_u32_e64 v104, null, s35, v71, vcc_lo
	s_waitcnt vmcnt(4)
	v_add_co_u32 v72, vcc_lo, v72, v248
	s_delay_alu instid0(VALU_DEP_1) | instskip(SKIP_2) | instid1(VALU_DEP_1)
	v_add_co_ci_u32_e64 v73, null, v73, v249, vcc_lo
	s_waitcnt vmcnt(3)
	v_add_co_u32 v74, vcc_lo, v74, v248
	v_add_co_ci_u32_e64 v75, null, v75, v249, vcc_lo
	v_add_co_u32 v72, vcc_lo, v72, s2
	s_delay_alu instid0(VALU_DEP_1) | instskip(NEXT) | instid1(VALU_DEP_4)
	v_add_co_ci_u32_e64 v73, null, s3, v73, vcc_lo
	v_add_co_u32 v74, vcc_lo, v74, s2
	s_delay_alu instid0(VALU_DEP_1) | instskip(NEXT) | instid1(VALU_DEP_4)
	;; [unrolled: 3-line block ×3, first 2 shown]
	v_add_co_ci_u32_e64 v106, null, s35, v73, vcc_lo
	v_add_co_u32 v107, vcc_lo, s34, v74
	s_delay_alu instid0(VALU_DEP_1) | instskip(SKIP_2) | instid1(VALU_DEP_1)
	v_add_co_ci_u32_e64 v108, null, s35, v75, vcc_lo
	s_waitcnt vmcnt(2)
	v_add_co_u32 v76, vcc_lo, v76, v248
	v_add_co_ci_u32_e64 v77, null, v77, v249, vcc_lo
	s_waitcnt vmcnt(1)
	v_add_co_u32 v79, vcc_lo, v79, v248
	s_delay_alu instid0(VALU_DEP_1) | instskip(SKIP_1) | instid1(VALU_DEP_1)
	v_add_co_ci_u32_e64 v80, null, v80, v249, vcc_lo
	v_add_co_u32 v76, vcc_lo, v76, s2
	v_add_co_ci_u32_e64 v77, null, s3, v77, vcc_lo
	s_delay_alu instid0(VALU_DEP_4) | instskip(NEXT) | instid1(VALU_DEP_1)
	v_add_co_u32 v81, vcc_lo, v79, s2
	v_add_co_ci_u32_e64 v80, null, s3, v80, vcc_lo
	s_delay_alu instid0(VALU_DEP_4) | instskip(NEXT) | instid1(VALU_DEP_1)
	;; [unrolled: 3-line block ×3, first 2 shown]
	v_add_co_u32 v110, vcc_lo, s34, v81
	v_add_co_ci_u32_e64 v111, null, s35, v80, vcc_lo
	s_waitcnt vmcnt(0)
	v_add_co_u32 v82, vcc_lo, v82, v248
	s_delay_alu instid0(VALU_DEP_1) | instskip(SKIP_1) | instid1(VALU_DEP_1)
	v_add_co_ci_u32_e64 v83, null, v83, v249, vcc_lo
	v_add_co_u32 v84, vcc_lo, v124, v248
	v_add_co_ci_u32_e64 v85, null, v125, v249, vcc_lo
	s_delay_alu instid0(VALU_DEP_4) | instskip(NEXT) | instid1(VALU_DEP_1)
	v_add_co_u32 v82, vcc_lo, v82, s2
	v_add_co_ci_u32_e64 v83, null, s3, v83, vcc_lo
	s_delay_alu instid0(VALU_DEP_4) | instskip(NEXT) | instid1(VALU_DEP_1)
	v_add_co_u32 v84, vcc_lo, v84, s2
	v_add_co_ci_u32_e64 v85, null, s3, v85, vcc_lo
	s_delay_alu instid0(VALU_DEP_4) | instskip(NEXT) | instid1(VALU_DEP_1)
	v_add_co_u32 v124, vcc_lo, s34, v82
	v_add_co_ci_u32_e64 v125, null, s35, v83, vcc_lo
	s_delay_alu instid0(VALU_DEP_4) | instskip(NEXT) | instid1(VALU_DEP_1)
	v_add_co_u32 v251, vcc_lo, s34, v84
	v_add_co_ci_u32_e64 v132, null, s35, v85, vcc_lo
	v_add_co_u32 v86, vcc_lo, v122, v248
	s_delay_alu instid0(VALU_DEP_1) | instskip(SKIP_1) | instid1(VALU_DEP_1)
	v_add_co_ci_u32_e64 v87, null, v123, v249, vcc_lo
	v_add_co_u32 v88, vcc_lo, v120, v248
	v_add_co_ci_u32_e64 v89, null, v121, v249, vcc_lo
	s_delay_alu instid0(VALU_DEP_4) | instskip(NEXT) | instid1(VALU_DEP_1)
	v_add_co_u32 v86, vcc_lo, v86, s2
	v_add_co_ci_u32_e64 v87, null, s3, v87, vcc_lo
	s_delay_alu instid0(VALU_DEP_4) | instskip(NEXT) | instid1(VALU_DEP_1)
	v_add_co_u32 v88, vcc_lo, v88, s2
	v_add_co_ci_u32_e64 v89, null, s3, v89, vcc_lo
	s_delay_alu instid0(VALU_DEP_4) | instskip(NEXT) | instid1(VALU_DEP_1)
	v_add_co_u32 v120, vcc_lo, s34, v86
	v_add_co_ci_u32_e64 v121, null, s35, v87, vcc_lo
	s_delay_alu instid0(VALU_DEP_4) | instskip(NEXT) | instid1(VALU_DEP_1)
	v_add_co_u32 v122, vcc_lo, s34, v88
	v_add_co_ci_u32_e64 v78, null, s35, v89, vcc_lo
	;; [unrolled: 17-line block ×3, first 2 shown]
	v_add_co_u32 v94, vcc_lo, v114, v248
	s_delay_alu instid0(VALU_DEP_1) | instskip(SKIP_1) | instid1(VALU_DEP_1)
	v_add_co_ci_u32_e64 v95, null, v115, v249, vcc_lo
	v_add_co_u32 v96, vcc_lo, v248, v112
	v_add_co_ci_u32_e64 v97, null, v249, v113, vcc_lo
	s_clause 0xa                            ; 164-byte Folded Reload
	scratch_load_b128 v[216:219], off, off offset:260
	scratch_load_b128 v[220:223], off, off offset:276
	;; [unrolled: 1-line block ×10, first 2 shown]
	scratch_load_b32 v250, off, off offset:1460
	v_add_co_u32 v94, vcc_lo, v94, s2
	s_delay_alu instid0(VALU_DEP_1) | instskip(SKIP_1) | instid1(VALU_DEP_1)
	v_add_co_ci_u32_e64 v95, null, s3, v95, vcc_lo
	v_add_co_u32 v96, vcc_lo, v96, s2
	v_add_co_ci_u32_e64 v97, null, s3, v97, vcc_lo
	s_delay_alu instid0(VALU_DEP_4) | instskip(NEXT) | instid1(VALU_DEP_1)
	v_add_co_u32 v112, vcc_lo, s34, v94
	v_add_co_ci_u32_e64 v113, null, s35, v95, vcc_lo
	s_delay_alu instid0(VALU_DEP_4) | instskip(NEXT) | instid1(VALU_DEP_1)
	v_add_co_u32 v114, vcc_lo, s34, v96
	v_add_co_ci_u32_e64 v115, null, s35, v97, vcc_lo
	v_add_co_u32 v123, vcc_lo, s38, v64
	s_delay_alu instid0(VALU_DEP_1) | instskip(SKIP_1) | instid1(VALU_DEP_1)
	v_add_co_ci_u32_e64 v142, null, s39, v65, vcc_lo
	v_add_co_u32 v66, vcc_lo, s38, v66
	v_add_co_ci_u32_e64 v67, null, s39, v67, vcc_lo
	v_add_co_u32 v143, vcc_lo, s38, v68
	s_delay_alu instid0(VALU_DEP_1) | instskip(SKIP_1) | instid1(VALU_DEP_1)
	v_add_co_ci_u32_e64 v146, null, s39, v69, vcc_lo
	;; [unrolled: 5-line block ×8, first 2 shown]
	v_add_co_u32 v92, vcc_lo, s38, v96
	v_add_co_ci_u32_e64 v87, null, s39, v97, vcc_lo
	v_dual_mov_b32 v35, v89 :: v_dual_mov_b32 v36, v88
	v_dual_mov_b32 v37, v84 :: v_dual_mov_b32 v38, v65
	v_mov_b32_e32 v39, v64
.LBB0_210:                              ; =>This Inner Loop Header: Depth=1
	.loc	1 120 19 is_stmt 1              ; attention_bwd.py:120:19 @[ attention_bwd.py:253:40 ]
	v_add_co_u32 v64, vcc_lo, v92, s12
	s_delay_alu instid0(VALU_DEP_1)
	v_add_co_ci_u32_e64 v65, null, s13, v87, vcc_lo
	s_clause 0x1f                           ; 224-byte Folded Spill
	scratch_store_b128 off, v[0:3], off offset:164
	scratch_store_b128 off, v[4:7], off offset:180
	scratch_store_b32 off, v121, off offset:1300
	scratch_store_b32 off, v82, off offset:1296
	;; [unrolled: 1-line block ×16, first 2 shown]
	scratch_store_b128 off, v[184:187], off offset:1208
	scratch_store_b128 off, v[188:191], off offset:1224
	;; [unrolled: 1-line block ×4, first 2 shown]
	scratch_store_b32 off, v144, off offset:1172
	scratch_store_b32 off, v104, off offset:1168
	;; [unrolled: 1-line block ×3, first 2 shown]
	scratch_store_b128 off, v[40:43], off offset:1132
	scratch_store_b128 off, v[44:47], off offset:1148
	scratch_store_b32 off, v77, off offset:1128
	scratch_store_b32 off, v86, off offset:1124
	;; [unrolled: 1-line block ×5, first 2 shown]
	s_clause 0x1b                           ; 112-byte Folded Spill
	scratch_store_b32 off, v113, off offset:1052
	scratch_store_b32 off, v117, off offset:1020
	;; [unrolled: 1-line block ×28, first 2 shown]
	.loc	1 102 21                        ; attention_bwd.py:102:21 @[ attention_bwd.py:253:40 ]
	global_load_u16 v0, v[64:65], off
	.loc	1 120 19                        ; attention_bwd.py:120:19 @[ attention_bwd.py:253:40 ]
	v_add_co_u32 v64, vcc_lo, v90, s12
	s_delay_alu instid0(VALU_DEP_1)
	v_add_co_ci_u32_e64 v65, null, s13, v91, vcc_lo
	s_waitcnt vmcnt(0)
	s_clause 0x1                            ; 8-byte Folded Spill
	scratch_store_b32 off, v0, off offset:1332
	scratch_store_b32 off, v90, off offset:1304
	.loc	1 102 21                        ; attention_bwd.py:102:21 @[ attention_bwd.py:253:40 ]
	global_load_u16 v0, v[64:65], off
	.loc	1 120 19                        ; attention_bwd.py:120:19 @[ attention_bwd.py:253:40 ]
	v_add_co_u32 v64, vcc_lo, v36, s12
	s_delay_alu instid0(VALU_DEP_1)
	v_add_co_ci_u32_e64 v65, null, s13, v35, vcc_lo
	s_waitcnt vmcnt(0)
	s_clause 0x1                            ; 8-byte Folded Spill
	scratch_store_b32 off, v0, off offset:1336
	scratch_store_b32 off, v36, off offset:1312
	;; [unrolled: 10-line block ×3, first 2 shown]
	.loc	1 102 21                        ; attention_bwd.py:102:21 @[ attention_bwd.py:253:40 ]
	global_load_u16 v0, v[64:65], off
	.loc	1 120 19                        ; attention_bwd.py:120:19 @[ attention_bwd.py:253:40 ]
	v_add_co_u32 v64, vcc_lo, v79, s12
	s_delay_alu instid0(VALU_DEP_1) | instskip(SKIP_2) | instid1(SALU_CYCLE_1)
	v_add_co_ci_u32_e64 v65, null, s13, v39, vcc_lo
	v_dual_mov_b32 v134, v142 :: v_dual_mov_b32 v135, v92
	.loc	1 101 25                        ; attention_bwd.py:101:25 @[ attention_bwd.py:253:40 ]
	s_add_i32 s1, s1, -1
	s_cmp_lg_u32 s1, 0
	.loc	1 120 19                        ; attention_bwd.py:120:19 @[ attention_bwd.py:253:40 ]
	s_waitcnt vmcnt(0)
	scratch_store_b32 off, v0, off offset:1344 ; 4-byte Folded Spill
	.loc	1 102 21                        ; attention_bwd.py:102:21 @[ attention_bwd.py:253:40 ]
	global_load_u16 v0, v[64:65], off
	.loc	1 120 19                        ; attention_bwd.py:120:19 @[ attention_bwd.py:253:40 ]
	v_add_co_u32 v64, vcc_lo, v86, s12
	s_delay_alu instid0(VALU_DEP_1)
	v_add_co_ci_u32_e64 v65, null, s13, v80, vcc_lo
	v_dual_mov_b32 v86, v255 :: v_dual_mov_b32 v255, v125
	s_waitcnt vmcnt(0)
	scratch_store_b32 off, v0, off offset:1348 ; 4-byte Folded Spill
	.loc	1 102 21                        ; attention_bwd.py:102:21 @[ attention_bwd.py:253:40 ]
	global_load_u16 v0, v[64:65], off
	.loc	1 120 19                        ; attention_bwd.py:120:19 @[ attention_bwd.py:253:40 ]
	v_add_co_u32 v64, vcc_lo, v241, s12
	s_delay_alu instid0(VALU_DEP_1) | instskip(SKIP_4) | instid1(VALU_DEP_1)
	v_add_co_ci_u32_e64 v65, null, s13, v81, vcc_lo
	s_waitcnt vmcnt(0)
	scratch_store_b32 off, v0, off offset:1352 ; 4-byte Folded Spill
	.loc	1 102 21                        ; attention_bwd.py:102:21 @[ attention_bwd.py:253:40 ]
	global_load_u16 v0, v[64:65], off
	.loc	1 120 19                        ; attention_bwd.py:120:19 @[ attention_bwd.py:253:40 ]
	v_add_co_u32 v64, vcc_lo, v82, s12
	v_add_co_ci_u32_e64 v65, null, s13, v133, vcc_lo
	s_waitcnt vmcnt(0)
	scratch_store_b32 off, v0, off offset:1356 ; 4-byte Folded Spill
	.loc	1 102 21                        ; attention_bwd.py:102:21 @[ attention_bwd.py:253:40 ]
	global_load_u16 v0, v[64:65], off
	.loc	1 120 19                        ; attention_bwd.py:120:19 @[ attention_bwd.py:253:40 ]
	v_add_co_u32 v64, vcc_lo, v75, s12
	s_delay_alu instid0(VALU_DEP_1) | instskip(SKIP_4) | instid1(VALU_DEP_1)
	v_add_co_ci_u32_e64 v65, null, s13, v76, vcc_lo
	s_waitcnt vmcnt(0)
	scratch_store_b32 off, v0, off offset:1360 ; 4-byte Folded Spill
	.loc	1 102 21                        ; attention_bwd.py:102:21 @[ attention_bwd.py:253:40 ]
	global_load_u16 v0, v[64:65], off
	.loc	1 120 19                        ; attention_bwd.py:120:19 @[ attention_bwd.py:253:40 ]
	v_add_co_u32 v64, vcc_lo, v74, s12
	v_add_co_ci_u32_e64 v65, null, s13, v77, vcc_lo
	s_waitcnt vmcnt(0)
	scratch_store_b32 off, v0, off offset:1364 ; 4-byte Folded Spill
	.loc	1 102 21                        ; attention_bwd.py:102:21 @[ attention_bwd.py:253:40 ]
	global_load_u16 v0, v[64:65], off
	.loc	1 120 19                        ; attention_bwd.py:120:19 @[ attention_bwd.py:253:40 ]
	v_add_co_u32 v64, vcc_lo, v72, s12
	s_delay_alu instid0(VALU_DEP_1) | instskip(SKIP_4) | instid1(VALU_DEP_1)
	v_add_co_ci_u32_e64 v65, null, s13, v73, vcc_lo
	s_waitcnt vmcnt(0)
	scratch_store_b32 off, v0, off offset:1368 ; 4-byte Folded Spill
	.loc	1 102 21                        ; attention_bwd.py:102:21 @[ attention_bwd.py:253:40 ]
	global_load_u16 v0, v[64:65], off
	.loc	1 120 19                        ; attention_bwd.py:120:19 @[ attention_bwd.py:253:40 ]
	v_add_co_u32 v64, vcc_lo, v70, s12
	v_add_co_ci_u32_e64 v65, null, s13, v71, vcc_lo
	s_waitcnt vmcnt(0)
	scratch_store_b32 off, v0, off offset:1372 ; 4-byte Folded Spill
	.loc	1 102 21                        ; attention_bwd.py:102:21 @[ attention_bwd.py:253:40 ]
	global_load_u16 v0, v[64:65], off
	.loc	1 120 19                        ; attention_bwd.py:120:19 @[ attention_bwd.py:253:40 ]
	v_add_co_u32 v64, vcc_lo, v68, s12
	s_delay_alu instid0(VALU_DEP_1) | instskip(SKIP_4) | instid1(VALU_DEP_1)
	v_add_co_ci_u32_e64 v65, null, s13, v69, vcc_lo
	s_waitcnt vmcnt(0)
	scratch_store_b32 off, v0, off offset:1376 ; 4-byte Folded Spill
	.loc	1 102 21                        ; attention_bwd.py:102:21 @[ attention_bwd.py:253:40 ]
	global_load_u16 v0, v[64:65], off
	.loc	1 120 19                        ; attention_bwd.py:120:19 @[ attention_bwd.py:253:40 ]
	v_add_co_u32 v64, vcc_lo, v143, s12
	v_add_co_ci_u32_e64 v65, null, s13, v146, vcc_lo
	.loc	1 104 23                        ; attention_bwd.py:104:23 @[ attention_bwd.py:253:40 ]
	v_dual_mov_b32 v151, s11 :: v_dual_mov_b32 v150, s10
	v_dual_mov_b32 v149, s9 :: v_dual_mov_b32 v148, s8
	v_dual_mov_b32 v147, s7 :: v_dual_mov_b32 v146, s6
	v_dual_mov_b32 v145, s5 :: v_dual_mov_b32 v144, s4
	.loc	1 120 19                        ; attention_bwd.py:120:19 @[ attention_bwd.py:253:40 ]
	s_waitcnt vmcnt(0)
	scratch_store_b32 off, v0, off offset:1380 ; 4-byte Folded Spill
	.loc	1 102 21                        ; attention_bwd.py:102:21 @[ attention_bwd.py:253:40 ]
	global_load_u16 v0, v[64:65], off
	.loc	1 120 19                        ; attention_bwd.py:120:19 @[ attention_bwd.py:253:40 ]
	v_add_co_u32 v64, vcc_lo, v66, s12
	s_delay_alu instid0(VALU_DEP_1) | instskip(SKIP_4) | instid1(VALU_DEP_1)
	v_add_co_ci_u32_e64 v65, null, s13, v67, vcc_lo
	s_waitcnt vmcnt(0)
	scratch_store_b32 off, v0, off offset:1384 ; 4-byte Folded Spill
	.loc	1 102 21                        ; attention_bwd.py:102:21 @[ attention_bwd.py:253:40 ]
	global_load_u16 v0, v[64:65], off
	.loc	1 121 19                        ; attention_bwd.py:121:19 @[ attention_bwd.py:253:40 ]
	v_add_co_u32 v64, vcc_lo, v123, s12
	v_add_co_ci_u32_e64 v65, null, s13, v142, vcc_lo
	s_waitcnt vmcnt(0)
	scratch_store_b32 off, v0, off offset:1388 ; 4-byte Folded Spill
	.loc	1 102 21                        ; attention_bwd.py:102:21 @[ attention_bwd.py:253:40 ]
	global_load_u16 v0, v[64:65], off
	.loc	1 117 25                        ; attention_bwd.py:117:25 @[ attention_bwd.py:253:40 ]
	s_waitcnt vmcnt(0)
	scratch_store_b32 off, v0, off offset:1392 ; 4-byte Folded Spill
	s_waitcnt lgkmcnt(0)
	s_waitcnt_vscnt null, 0x0
	s_barrier
	buffer_gl0_inv
	.loc	1 104 23                        ; attention_bwd.py:104:23 @[ attention_bwd.py:253:40 ]
	s_clause 0x1                            ; 32-byte Folded Reload
	scratch_load_b128 v[0:3], off, off offset:420
	scratch_load_b128 v[4:7], off, off offset:436
	.loc	1 102 21                        ; attention_bwd.py:102:21 @[ attention_bwd.py:253:40 ]
	ds_load_u16 v198, v240 offset:768
	ds_load_u16 v192, v240
	ds_load_u16 v193, v240 offset:128
	ds_load_u16 v194, v240 offset:256
	;; [unrolled: 1-line block ×19, first 2 shown]
	s_waitcnt lgkmcnt(9)
	ds_load_u16_d16_hi v115, v240 offset:1376
	ds_load_u16 v199, v240 offset:896
	ds_load_u16 v136, v240 offset:2080
	s_waitcnt lgkmcnt(0)
	ds_load_u16_d16_hi v136, v240 offset:2144
	ds_load_u16 v110, v240 offset:1664
	ds_load_u16_d16_hi v197, v240 offset:704
	ds_load_u16_d16_hi v204, v240 offset:608
	ds_load_u16 v200, v240 offset:32
	ds_load_u16_d16_hi v192, v240 offset:64
	ds_load_u16_d16_hi v193, v240 offset:192
	ds_load_u16 v202, v240 offset:288
	ds_load_u16 v201, v240 offset:160
	;; [unrolled: 1-line block ×3, first 2 shown]
	ds_load_u16_d16_hi v198, v240 offset:832
	ds_load_u16 v206, v240 offset:800
	ds_load_u16_d16_hi v105, v240 offset:1088
	ds_load_u16_d16_hi v106, v240 offset:1216
	;; [unrolled: 1-line block ×4, first 2 shown]
	ds_load_u16 v116, v240 offset:1440
	ds_load_u16_d16_hi v109, v240 offset:1600
	ds_load_u16 v117, v240 offset:1568
	ds_load_u16_d16_hi v196, v240 offset:576
	ds_load_u16_d16_hi v194, v240 offset:320
	;; [unrolled: 1-line block ×6, first 2 shown]
	ds_load_u16 v137, v240 offset:2208
	ds_load_u16_d16_hi v199, v240 offset:960
	ds_load_u16 v113, v240 offset:1056
	ds_load_u16 v207, v240 offset:928
	s_waitcnt lgkmcnt(24)
	ds_load_u16_d16_hi v200, v240 offset:96
	ds_load_u16_d16_hi v110, v240 offset:1728
	ds_load_u16 v119, v240 offset:1824
	ds_load_u16 v118, v240 offset:1696
	s_waitcnt lgkmcnt(25)
	ds_load_u16_d16_hi v202, v240 offset:352
	s_waitcnt lgkmcnt(25)
	ds_load_u16_d16_hi v201, v240 offset:224
	;; [unrolled: 2-line block ×4, first 2 shown]
	ds_load_u16_d16_hi v114, v240 offset:1248
	ds_load_u16_d16_hi v120, v240 offset:2016
	s_waitcnt lgkmcnt(22)
	ds_load_u16_d16_hi v116, v240 offset:1504
	s_waitcnt lgkmcnt(21)
	ds_load_u16_d16_hi v117, v240 offset:1632
	s_clause 0xb                            ; 192-byte Folded Reload
	scratch_load_b128 v[78:81], off, off offset:196
	scratch_load_b128 v[82:85], off, off offset:212
	;; [unrolled: 1-line block ×12, first 2 shown]
	s_waitcnt lgkmcnt(13)
	ds_load_u16_d16_hi v113, v240 offset:1120
	s_waitcnt lgkmcnt(13)
	ds_load_u16_d16_hi v207, v240 offset:992
	;; [unrolled: 2-line block ×4, first 2 shown]
	.loc	1 103 21                        ; attention_bwd.py:103:21 @[ attention_bwd.py:253:40 ]
	ds_load_u16 v126, v240 offset:7840
	ds_load_u16 v125, v240 offset:7712
	.loc	1 104 23                        ; attention_bwd.py:104:23 @[ attention_bwd.py:253:40 ]
	s_waitcnt vmcnt(12)
	v_wmma_f32_16x16x16_f16 v[152:159], v[192:199], v[0:7], v[144:151]
	s_clause 0x1                            ; 32-byte Folded Reload
	scratch_load_b128 v[0:3], off, off offset:36
	scratch_load_b128 v[4:7], off, off offset:52
	s_waitcnt vmcnt(0)
	v_wmma_f32_16x16x16_f16 v[160:167], v[192:199], v[0:7], v[144:151]
	s_clause 0x1                            ; 32-byte Folded Reload
	scratch_load_b128 v[0:3], off, off offset:4
	scratch_load_b128 v[4:7], off, off offset:20
	;; [unrolled: 5-line block ×3, first 2 shown]
	s_waitcnt vmcnt(0)
	v_wmma_f32_16x16x16_f16 v[160:167], v[105:112], v[0:7], v[160:167]
	.loc	1 112 24                        ; attention_bwd.py:112:24 @[ attention_bwd.py:253:40 ]
	s_clause 0x1                            ; 32-byte Folded Reload
	scratch_load_b128 v[0:3], off, off offset:132
	scratch_load_b128 v[4:7], off, off offset:148
	.loc	1 103 21                        ; attention_bwd.py:103:21 @[ attention_bwd.py:253:40 ]
	ds_load_u16 v107, v240 offset:5376
	ds_load_u16 v106, v240 offset:5248
	;; [unrolled: 1-line block ×21, first 2 shown]
	s_waitcnt lgkmcnt(12)
	ds_load_u16_d16_hi v178, v240 offset:4448
	ds_load_u16 v67, v240 offset:4096
	ds_load_u16_d16_hi v198, v240 offset:5984
	ds_load_u16 v108, v240 offset:5504
	ds_load_u16_d16_hi v192, v240 offset:5216
	ds_load_u16_d16_hi v71, v240 offset:4672
	;; [unrolled: 1-line block ×3, first 2 shown]
	ds_load_u16 v182, v240 offset:4896
	ds_load_u16 v181, v240 offset:4768
	s_waitcnt lgkmcnt(19)
	ds_load_u16_d16_hi v68, v240 offset:4288
	s_waitcnt lgkmcnt(19)
	ds_load_u16_d16_hi v69, v240 offset:4416
	ds_load_u16_d16_hi v70, v240 offset:4544
	ds_load_u16 v179, v240 offset:4512
	ds_load_u16 v180, v240 offset:4640
	s_waitcnt lgkmcnt(22)
	ds_load_u16_d16_hi v73, v240 offset:4928
	s_waitcnt lgkmcnt(22)
	ds_load_u16_d16_hi v74, v240 offset:5056
	;; [unrolled: 2-line block ×3, first 2 shown]
	ds_load_u16_d16_hi v106, v240 offset:5312
	ds_load_u16 v193, v240 offset:5280
	ds_load_u16_d16_hi v183, v240 offset:5088
	ds_load_u16_d16_hi v107, v240 offset:5440
	ds_load_u16 v194, v240 offset:5408
	.loc	1 102 21                        ; attention_bwd.py:102:21 @[ attention_bwd.py:253:40 ]
	ds_load_u16 v75, v240 offset:3744
	ds_load_u16 v76, v240 offset:3872
	.loc	1 103 21                        ; attention_bwd.py:103:21 @[ attention_bwd.py:253:40 ]
	s_waitcnt lgkmcnt(29)
	ds_load_u16_d16_hi v109, v240 offset:5696
	s_waitcnt lgkmcnt(29)
	ds_load_u16_d16_hi v110, v240 offset:5824
	;; [unrolled: 2-line block ×4, first 2 shown]
	ds_load_u16 v199, v240 offset:6048
	ds_load_u16 v176, v240 offset:4128
	.loc	1 102 21                        ; attention_bwd.py:102:21 @[ attention_bwd.py:253:40 ]
	ds_load_u16 v77, v240 offset:4000
	ds_load_u16 v96, v240 offset:3968
	.loc	1 103 21                        ; attention_bwd.py:103:21 @[ attention_bwd.py:253:40 ]
	s_waitcnt lgkmcnt(30)
	ds_load_u16_d16_hi v67, v240 offset:4160
	ds_load_u16 v196, v240 offset:5664
	ds_load_u16 v195, v240 offset:5536
	s_waitcnt lgkmcnt(31)
	ds_load_u16_d16_hi v108, v240 offset:5568
	s_waitcnt lgkmcnt(23)
	ds_load_u16_d16_hi v179, v240 offset:4576
	;; [unrolled: 2-line block ×3, first 2 shown]
	ds_load_u16_d16_hi v182, v240 offset:4960
	ds_load_u16_d16_hi v181, v240 offset:4832
	;; [unrolled: 1-line block ×3, first 2 shown]
	s_waitcnt lgkmcnt(22)
	ds_load_u16_d16_hi v193, v240 offset:5344
	s_waitcnt lgkmcnt(20)
	ds_load_u16_d16_hi v194, v240 offset:5472
	.loc	1 102 21                        ; attention_bwd.py:102:21 @[ attention_bwd.py:253:40 ]
	s_waitcnt lgkmcnt(20)
	ds_load_u16_d16_hi v75, v240 offset:3808
	s_waitcnt lgkmcnt(20)
	ds_load_u16_d16_hi v76, v240 offset:3936
	.loc	1 103 21                        ; attention_bwd.py:103:21 @[ attention_bwd.py:253:40 ]
	ds_load_u16_d16_hi v177, v240 offset:4320
	s_waitcnt lgkmcnt(16)
	ds_load_u16_d16_hi v176, v240 offset:4192
	.loc	1 102 21                        ; attention_bwd.py:102:21 @[ attention_bwd.py:253:40 ]
	s_waitcnt lgkmcnt(16)
	ds_load_u16_d16_hi v77, v240 offset:4064
	.loc	1 103 21                        ; attention_bwd.py:103:21 @[ attention_bwd.py:253:40 ]
	ds_load_u16_d16_hi v199, v240 offset:6112
	s_waitcnt lgkmcnt(15)
	ds_load_u16_d16_hi v196, v240 offset:5728
	s_waitcnt lgkmcnt(15)
	ds_load_u16_d16_hi v195, v240 offset:5600
	.loc	1 112 24                        ; attention_bwd.py:112:24 @[ attention_bwd.py:253:40 ]
	v_wmma_f32_16x16x16_f16 v[97:104], v[67:74], v[242:249], v[144:151]
	s_waitcnt vmcnt(0)
	v_wmma_f32_16x16x16_f16 v[184:191], v[67:74], v[0:7], v[144:151]
	s_clause 0x3                            ; 64-byte Folded Reload
	scratch_load_b128 v[0:3], off, off offset:388
	scratch_load_b128 v[4:7], off, off offset:404
	;; [unrolled: 1-line block ×4, first 2 shown]
	s_waitcnt vmcnt(2) lgkmcnt(15)
	v_wmma_f32_16x16x16_f16 v[184:191], v[105:112], v[0:7], v[184:191]
	s_clause 0x1                            ; 32-byte Folded Reload
	scratch_load_b128 v[0:3], off, off offset:68
	scratch_load_b128 v[4:7], off, off offset:84
	s_waitcnt vmcnt(2)
	v_wmma_f32_16x16x16_f16 v[97:104], v[105:112], v[67:74], v[97:104]
	.loc	1 102 21                        ; attention_bwd.py:102:21 @[ attention_bwd.py:253:40 ]
	ds_load_u16 v89, v240 offset:3072
	ds_load_u16 v142, v240 offset:2848
	;; [unrolled: 1-line block ×13, first 2 shown]
	s_waitcnt lgkmcnt(11)
	ds_load_u16_d16_hi v142, v240 offset:2912
	ds_load_u16 v67, v240 offset:2432
	ds_load_u16_d16_hi v64, v240 offset:2112
	s_waitcnt lgkmcnt(13)
	ds_load_u16_d16_hi v65, v240 offset:2240
	ds_load_u16_d16_hi v66, v240 offset:2368
	ds_load_u16 v138, v240 offset:2336
	s_waitcnt lgkmcnt(15)
	ds_load_u16_d16_hi v68, v240 offset:2624
	s_waitcnt lgkmcnt(15)
	ds_load_u16_d16_hi v69, v240 offset:2752
	;; [unrolled: 2-line block ×4, first 2 shown]
	ds_load_u16 v143, v240 offset:2976
	ds_load_u16 v140, v240 offset:2592
	;; [unrolled: 1-line block ×5, first 2 shown]
	s_waitcnt lgkmcnt(18)
	ds_load_u16_d16_hi v74, v240 offset:3680
	ds_load_u16 v90, v240 offset:3200
	ds_load_u16_d16_hi v95, v240 offset:3904
	s_waitcnt lgkmcnt(20)
	ds_load_u16_d16_hi v93, v240 offset:3648
	s_waitcnt lgkmcnt(20)
	;; [unrolled: 2-line block ×4, first 2 shown]
	ds_load_u16_d16_hi v67, v240 offset:2496
	ds_load_u16_d16_hi v137, v240 offset:2272
	s_waitcnt lgkmcnt(17)
	ds_load_u16_d16_hi v138, v240 offset:2400
	ds_load_u16_d16_hi v141, v240 offset:2784
	s_waitcnt lgkmcnt(13)
	ds_load_u16_d16_hi v140, v240 offset:2656
	s_waitcnt lgkmcnt(13)
	ds_load_u16_d16_hi v139, v240 offset:2528
	.loc	1 103 21                        ; attention_bwd.py:103:21 @[ attention_bwd.py:253:40 ]
	ds_load_u16 v170, v240 offset:6400
	ds_load_u16 v171, v240 offset:6528
	;; [unrolled: 1-line block ×13, first 2 shown]
	s_waitcnt lgkmcnt(3)
	ds_load_u16_d16_hi v212, v240 offset:6752
	ds_load_u16 v169, v240 offset:6272
	s_waitcnt lgkmcnt(3)
	ds_load_u16_d16_hi v123, v240 offset:7520
	ds_load_u16_d16_hi v174, v240 offset:6976
	;; [unrolled: 1-line block ×3, first 2 shown]
	ds_load_u16 v121, v240 offset:7200
	ds_load_u16 v215, v240 offset:7072
	ds_load_u16_d16_hi v170, v240 offset:6464
	ds_load_u16_d16_hi v171, v240 offset:6592
	;; [unrolled: 1-line block ×4, first 2 shown]
	ds_load_u16 v213, v240 offset:6816
	ds_load_u16 v214, v240 offset:6944
	ds_load_u16_d16_hi v168, v240 offset:6208
	ds_load_u16 v208, v240 offset:6176
	ds_load_u16 v210, v240 offset:6432
	;; [unrolled: 1-line block ×3, first 2 shown]
	.loc	1 104 23                        ; attention_bwd.py:104:23 @[ attention_bwd.py:253:40 ]
	v_wmma_f32_16x16x16_f16 v[152:159], v[64:71], v[232:239], v[152:159]
	v_wmma_f32_16x16x16_f16 v[160:167], v[64:71], v[78:85], v[160:167]
	.loc	1 102 21                        ; attention_bwd.py:102:21 @[ attention_bwd.py:253:40 ]
	ds_load_u16_d16_hi v92, v240 offset:3520
	ds_load_u16_d16_hi v89, v240 offset:3136
	ds_load_u16 v70, v240 offset:3104
	ds_load_u16_d16_hi v90, v240 offset:3264
	ds_load_u16 v72, v240 offset:3360
	ds_load_u16 v71, v240 offset:3232
	ds_load_u16_d16_hi v96, v240 offset:4032
	ds_load_u16_d16_hi v73, v240 offset:3552
	.loc	1 103 21                        ; attention_bwd.py:103:21 @[ attention_bwd.py:253:40 ]
	s_waitcnt lgkmcnt(23)
	ds_load_u16_d16_hi v169, v240 offset:6336
	ds_load_u16_d16_hi v211, v240 offset:6624
	s_waitcnt lgkmcnt(12)
	ds_load_u16_d16_hi v208, v240 offset:6240
	s_waitcnt lgkmcnt(12)
	;; [unrolled: 2-line block ×3, first 2 shown]
	ds_load_u16_d16_hi v209, v240 offset:6368
	ds_load_u16 v109, v240 offset:7680
	ds_load_u16 v111, v240 offset:7936
	;; [unrolled: 1-line block ×6, first 2 shown]
	.loc	1 104 23                        ; attention_bwd.py:104:23 @[ attention_bwd.py:253:40 ]
	s_waitcnt lgkmcnt(12)
	v_wmma_f32_16x16x16_f16 v[152:159], v[89:96], v[48:55], v[152:159]
	v_mov_b32_e32 v254, v241
	scratch_load_b32 v241, off, off offset:1496 ; 4-byte Folded Reload
	.loc	1 103 21                        ; attention_bwd.py:103:21 @[ attention_bwd.py:253:40 ]
	s_waitcnt lgkmcnt(5)
	ds_load_u16_d16_hi v109, v240 offset:7744
	s_waitcnt lgkmcnt(5)
	ds_load_u16_d16_hi v111, v240 offset:8000
	;; [unrolled: 2-line block ×4, first 2 shown]
	ds_load_u16 v127, v240 offset:7968
	v_dual_mov_b32 v88, v124 :: v_dual_sub_f32 v65, v153, v252
	ds_load_u16 v124, v240 offset:7584
	ds_load_u16_d16_hi v107, v240 offset:7488
	s_waitcnt lgkmcnt(8)
	ds_load_u16_d16_hi v108, v240 offset:7616
	ds_load_u16_d16_hi v105, v240 offset:7232
	;; [unrolled: 1-line block ×4, first 2 shown]
	s_waitcnt lgkmcnt(11)
	ds_load_u16_d16_hi v128, v240 offset:8160
	ds_load_u16_d16_hi v213, v240 offset:6880
	;; [unrolled: 1-line block ×5, first 2 shown]
	.loc	1 104 23                        ; attention_bwd.py:104:23 @[ attention_bwd.py:253:40 ]
	v_wmma_f32_16x16x16_f16 v[160:167], v[89:96], v[32:39], v[160:167]
	.loc	1 105 30                        ; attention_bwd.py:105:30 @[ attention_bwd.py:253:40 ]
	v_sub_f32_e32 v67, v155, v252
	v_sub_f32_e32 v90, v159, v252
	.loc	1 105 25 is_stmt 0              ; attention_bwd.py:105:25 @[ attention_bwd.py:253:40 ]
	v_exp_f32_e32 v65, v65
	.loc	1 112 24 is_stmt 1              ; attention_bwd.py:112:24 @[ attention_bwd.py:253:40 ]
	v_wmma_f32_16x16x16_f16 v[184:191], v[168:175], v[224:231], v[184:191]
	.loc	1 102 21                        ; attention_bwd.py:102:21 @[ attention_bwd.py:253:40 ]
	ds_load_u16_d16_hi v143, v240 offset:3040
	ds_load_u16_d16_hi v70, v240 offset:3168
	;; [unrolled: 1-line block ×4, first 2 shown]
	.loc	1 103 21                        ; attention_bwd.py:103:21 @[ attention_bwd.py:253:40 ]
	s_waitcnt lgkmcnt(14)
	ds_load_u16_d16_hi v124, v240 offset:7648
	ds_load_u16_d16_hi v125, v240 offset:7776
	;; [unrolled: 1-line block ×4, first 2 shown]
	.loc	1 112 24                        ; attention_bwd.py:112:24 @[ attention_bwd.py:253:40 ]
	s_waitcnt lgkmcnt(14)
	v_wmma_f32_16x16x16_f16 v[184:191], v[105:112], v[8:15], v[184:191]
	s_waitcnt vmcnt(1)
	v_wmma_f32_16x16x16_f16 v[97:104], v[168:175], v[0:7], v[97:104]
	s_clause 0x1                            ; 32-byte Folded Reload
	scratch_load_b128 v[0:3], off, off offset:548
	scratch_load_b128 v[4:7], off, off offset:564
	v_wmma_f32_16x16x16_f16 v[97:104], v[105:112], v[216:223], v[97:104]
	.loc	1 105 30                        ; attention_bwd.py:105:30 @[ attention_bwd.py:253:40 ]
	v_sub_f32_e32 v64, v152, v252
	v_sub_f32_e32 v66, v154, v252
	;; [unrolled: 1-line block ×3, first 2 shown]
	s_delay_alu instid0(VALU_DEP_4)
	v_dual_sub_f32 v68, v156, v252 :: v_dual_sub_f32 v95, v101, v130
	.loc	1 113 23                        ; attention_bwd.py:113:23 @[ attention_bwd.py:253:40 ]
	v_sub_f32_e32 v91, v97, v130
	.loc	1 105 25                        ; attention_bwd.py:105:25 @[ attention_bwd.py:253:40 ]
	v_exp_f32_e32 v64, v64
	.loc	1 113 23                        ; attention_bwd.py:113:23 @[ attention_bwd.py:253:40 ]
	v_sub_f32_e32 v92, v98, v130
	v_sub_f32_e32 v93, v99, v130
	.loc	1 105 30                        ; attention_bwd.py:105:30 @[ attention_bwd.py:253:40 ]
	v_dual_sub_f32 v89, v158, v252 :: v_dual_sub_f32 v94, v100, v130
	.loc	1 113 23                        ; attention_bwd.py:113:23 @[ attention_bwd.py:253:40 ]
	v_sub_f32_e32 v96, v102, v130
	v_sub_f32_e32 v97, v103, v130
	;; [unrolled: 1-line block ×3, first 2 shown]
	s_delay_alu instid0(TRANS32_DEP_1) | instskip(NEXT) | instid1(VALU_DEP_1)
	.loc	1 114 19                        ; attention_bwd.py:114:19 @[ attention_bwd.py:253:40 ]
	v_fma_mixlo_f16 v64, v64, v91, 0
	v_fma_mixhi_f16 v64, v65, v92, 0
	.loc	1 105 25                        ; attention_bwd.py:105:25 @[ attention_bwd.py:253:40 ]
	v_exp_f32_e32 v65, v66
	v_exp_f32_e32 v66, v67
	;; [unrolled: 1-line block ×3, first 2 shown]
	.loc	1 105 30 is_stmt 0              ; attention_bwd.py:105:30 @[ attention_bwd.py:253:40 ]
	v_sub_f32_e32 v69, v165, v253
	s_delay_alu instid0(TRANS32_DEP_3)
	.loc	1 114 19 is_stmt 1              ; attention_bwd.py:114:19 @[ attention_bwd.py:253:40 ]
	v_fma_mixlo_f16 v65, v65, v93, 0
	s_waitcnt_depctr depctr_va_vdst(0)
	v_fma_mixhi_f16 v65, v66, v94, 0
	.loc	1 105 25                        ; attention_bwd.py:105:25 @[ attention_bwd.py:253:40 ]
	v_exp_f32_e32 v66, v68
	v_exp_f32_e32 v68, v90
	.loc	1 114 19                        ; attention_bwd.py:114:19 @[ attention_bwd.py:253:40 ]
	s_waitcnt_depctr depctr_va_vdst(0)
	v_fma_mixlo_f16 v66, v66, v95, 0
	s_delay_alu instid0(VALU_DEP_1) | instskip(SKIP_3) | instid1(VALU_DEP_1)
	v_fma_mixhi_f16 v66, v67, v96, 0
	.loc	1 105 25                        ; attention_bwd.py:105:25 @[ attention_bwd.py:253:40 ]
	v_exp_f32_e32 v67, v89
	.loc	1 114 19                        ; attention_bwd.py:114:19 @[ attention_bwd.py:253:40 ]
	s_waitcnt_depctr depctr_va_vdst(0)
	v_fma_mixlo_f16 v67, v67, v97, 0
	v_fma_mixhi_f16 v67, v68, v98, 0
	v_permlanex16_b32 v68, v64, s14, 0xfedcba98 op_sel:[1,0]
	.loc	1 117 25                        ; attention_bwd.py:117:25 @[ attention_bwd.py:253:40 ]
	ds_load_b128 v[97:100], v250
	ds_load_b128 v[101:104], v250 offset:16
	ds_load_b128 v[105:108], v250 offset:1024
	;; [unrolled: 1-line block ×7, first 2 shown]
	.loc	1 114 19                        ; attention_bwd.py:114:19 @[ attention_bwd.py:253:40 ]
	v_perm_b32 v89, v68, v64, v129
	s_waitcnt vmcnt(2)
	v_perm_b32 v90, v68, v64, v241
	v_permlanex16_b32 v64, v65, s14, 0xfedcba98 op_sel:[1,0]
	.loc	1 105 30                        ; attention_bwd.py:105:30 @[ attention_bwd.py:253:40 ]
	v_sub_f32_e32 v68, v164, v253
	s_delay_alu instid0(VALU_DEP_2) | instskip(SKIP_4) | instid1(VALU_DEP_3)
	.loc	1 114 19                        ; attention_bwd.py:114:19 @[ attention_bwd.py:253:40 ]
	v_perm_b32 v91, v64, v65, v129
	v_perm_b32 v92, v64, v65, v241
	v_permlanex16_b32 v64, v66, s14, 0xfedcba98 op_sel:[1,0]
	.loc	1 105 30                        ; attention_bwd.py:105:30 @[ attention_bwd.py:253:40 ]
	v_sub_f32_e32 v65, v161, v253
	.loc	1 113 23                        ; attention_bwd.py:113:23 @[ attention_bwd.py:253:40 ]
	v_sub_f32_e32 v161, v191, v131
	.loc	1 114 19                        ; attention_bwd.py:114:19 @[ attention_bwd.py:253:40 ]
	v_perm_b32 v93, v64, v66, v129
	v_perm_b32 v94, v64, v66, v241
	v_permlanex16_b32 v64, v67, s14, 0xfedcba98 op_sel:[1,0]
	.loc	1 105 30                        ; attention_bwd.py:105:30 @[ attention_bwd.py:253:40 ]
	v_sub_f32_e32 v66, v162, v253
	.loc	1 105 25 is_stmt 0              ; attention_bwd.py:105:25 @[ attention_bwd.py:253:40 ]
	v_exp_f32_e32 v65, v65
	s_delay_alu instid0(VALU_DEP_2) | instskip(SKIP_4) | instid1(VALU_DEP_3)
	.loc	1 114 19 is_stmt 1              ; attention_bwd.py:114:19 @[ attention_bwd.py:253:40 ]
	v_perm_b32 v95, v64, v67, v129
	v_perm_b32 v96, v64, v67, v241
	.loc	1 105 30                        ; attention_bwd.py:105:30 @[ attention_bwd.py:253:40 ]
	v_sub_f32_e32 v64, v160, v253
	v_dual_sub_f32 v67, v163, v253 :: v_dual_sub_f32 v160, v190, v131
	.loc	1 117 25                        ; attention_bwd.py:117:25 @[ attention_bwd.py:253:40 ]
	s_waitcnt lgkmcnt(6)
	v_wmma_f32_16x16x16_f16 v[56:63], v[97:104], v[89:96], v[56:63]
	s_delay_alu instid0(VALU_DEP_3)
	.loc	1 105 25                        ; attention_bwd.py:105:25 @[ attention_bwd.py:253:40 ]
	v_exp_f32_e32 v64, v64
	.loc	1 117 25                        ; attention_bwd.py:117:25 @[ attention_bwd.py:253:40 ]
	s_waitcnt lgkmcnt(2)
	v_wmma_f32_16x16x16_f16 v[16:23], v[152:159], v[89:96], v[16:23]
	s_waitcnt lgkmcnt(0)
	v_wmma_f32_16x16x16_f16 v[24:31], v[168:175], v[89:96], v[24:31]
	s_waitcnt vmcnt(0)
	v_wmma_f32_16x16x16_f16 v[0:7], v[105:112], v[89:96], v[0:7]
	.loc	1 113 23                        ; attention_bwd.py:113:23 @[ attention_bwd.py:253:40 ]
	v_sub_f32_e32 v91, v184, v131
	.loc	1 105 30                        ; attention_bwd.py:105:30 @[ attention_bwd.py:253:40 ]
	v_dual_sub_f32 v89, v166, v253 :: v_dual_sub_f32 v92, v185, v131
	.loc	1 113 23                        ; attention_bwd.py:113:23 @[ attention_bwd.py:253:40 ]
	v_sub_f32_e32 v93, v186, v131
	v_sub_f32_e32 v94, v187, v131
	s_delay_alu instid0(VALU_DEP_4) | instskip(SKIP_2) | instid1(VALU_DEP_3)
	.loc	1 114 19                        ; attention_bwd.py:114:19 @[ attention_bwd.py:253:40 ]
	v_fma_mixlo_f16 v64, v64, v91, 0
	.loc	1 105 30                        ; attention_bwd.py:105:30 @[ attention_bwd.py:253:40 ]
	v_dual_sub_f32 v90, v167, v253 :: v_dual_sub_f32 v95, v188, v131
	.loc	1 113 23                        ; attention_bwd.py:113:23 @[ attention_bwd.py:253:40 ]
	v_sub_f32_e32 v96, v189, v131
	.loc	1 114 19                        ; attention_bwd.py:114:19 @[ attention_bwd.py:253:40 ]
	v_fma_mixhi_f16 v64, v65, v92, 0
	.loc	1 105 25                        ; attention_bwd.py:105:25 @[ attention_bwd.py:253:40 ]
	v_exp_f32_e32 v65, v66
	v_exp_f32_e32 v66, v67
	;; [unrolled: 1-line block ×3, first 2 shown]
	s_delay_alu instid0(TRANS32_DEP_3)
	.loc	1 114 19                        ; attention_bwd.py:114:19 @[ attention_bwd.py:253:40 ]
	v_fma_mixlo_f16 v65, v65, v93, 0
	s_waitcnt_depctr depctr_va_vdst(0)
	v_fma_mixhi_f16 v65, v66, v94, 0
	.loc	1 105 25                        ; attention_bwd.py:105:25 @[ attention_bwd.py:253:40 ]
	v_exp_f32_e32 v66, v68
	v_exp_f32_e32 v68, v90
	.loc	1 114 19                        ; attention_bwd.py:114:19 @[ attention_bwd.py:253:40 ]
	s_waitcnt_depctr depctr_va_vdst(0)
	v_fma_mixlo_f16 v66, v66, v95, 0
	s_delay_alu instid0(VALU_DEP_1) | instskip(SKIP_3) | instid1(VALU_DEP_1)
	v_fma_mixhi_f16 v66, v67, v96, 0
	.loc	1 105 25                        ; attention_bwd.py:105:25 @[ attention_bwd.py:253:40 ]
	v_exp_f32_e32 v67, v89
	.loc	1 114 19                        ; attention_bwd.py:114:19 @[ attention_bwd.py:253:40 ]
	s_waitcnt_depctr depctr_va_vdst(0)
	v_fma_mixlo_f16 v67, v67, v160, 0
	v_fma_mixhi_f16 v67, v68, v161, 0
	s_clause 0x5                            ; 96-byte Folded Reload
	scratch_load_b128 v[184:187], off, off offset:1208
	scratch_load_b128 v[188:191], off, off offset:1224
	;; [unrolled: 1-line block ×6, first 2 shown]
	v_permlanex16_b32 v68, v64, s14, 0xfedcba98 op_sel:[1,0]
	s_delay_alu instid0(VALU_DEP_1) | instskip(SKIP_2) | instid1(VALU_DEP_1)
	v_perm_b32 v89, v68, v64, v129
	v_perm_b32 v90, v68, v64, v241
	v_permlanex16_b32 v64, v65, s14, 0xfedcba98 op_sel:[1,0]
	v_perm_b32 v91, v64, v65, v129
	v_perm_b32 v92, v64, v65, v241
	v_permlanex16_b32 v64, v66, s14, 0xfedcba98 op_sel:[1,0]
	s_delay_alu instid0(VALU_DEP_1) | instskip(SKIP_2) | instid1(VALU_DEP_1)
	v_perm_b32 v93, v64, v66, v129
	v_perm_b32 v94, v64, v66, v241
	v_permlanex16_b32 v64, v67, s14, 0xfedcba98 op_sel:[1,0]
	v_perm_b32 v95, v64, v67, v129
	v_perm_b32 v96, v64, v67, v241
	.loc	1 117 25                        ; attention_bwd.py:117:25 @[ attention_bwd.py:253:40 ]
	s_waitcnt vmcnt(4)
	s_delay_alu instid0(VALU_DEP_1)
	v_wmma_f32_16x16x16_f16 v[184:191], v[152:159], v[89:96], v[184:191]
	s_waitcnt vmcnt(2)
	v_wmma_f32_16x16x16_f16 v[160:167], v[105:112], v[89:96], v[160:167]
	.loc	1 104 23                        ; attention_bwd.py:104:23 @[ attention_bwd.py:253:40 ]
	s_clause 0x1                            ; 32-byte Folded Reload
	scratch_load_b128 v[105:108], off, off offset:36
	scratch_load_b128 v[109:112], off, off offset:52
	.loc	1 117 25                        ; attention_bwd.py:117:25 @[ attention_bwd.py:253:40 ]
	s_waitcnt vmcnt(2)
	v_wmma_f32_16x16x16_f16 v[40:47], v[97:104], v[89:96], v[40:47]
	s_clause 0x1                            ; 32-byte Folded Reload
	scratch_load_b128 v[97:100], off, off offset:164
	scratch_load_b128 v[101:104], off, off offset:180
	s_waitcnt vmcnt(0)
	v_wmma_f32_16x16x16_f16 v[97:104], v[168:175], v[89:96], v[97:104]
	s_clause 0x1                            ; 32-byte Folded Spill
	scratch_store_b128 off, v[97:100], off offset:164
	scratch_store_b128 off, v[101:104], off offset:180
	.loc	1 104 23                        ; attention_bwd.py:104:23 @[ attention_bwd.py:253:40 ]
	s_clause 0x3                            ; 64-byte Folded Reload
	scratch_load_b128 v[97:100], off, off offset:420
	scratch_load_b128 v[101:104], off, off offset:436
	;; [unrolled: 1-line block ×4, first 2 shown]
	s_waitcnt vmcnt(2)
	v_nop
	v_wmma_f32_16x16x16_f16 v[89:96], v[200:207], v[97:104], v[144:151]
	v_wmma_f32_16x16x16_f16 v[97:104], v[200:207], v[105:112], v[144:151]
	.loc	1 112 24                        ; attention_bwd.py:112:24 @[ attention_bwd.py:253:40 ]
	v_wmma_f32_16x16x16_f16 v[105:112], v[176:183], v[242:249], v[144:151]
	s_waitcnt vmcnt(0)
	v_wmma_f32_16x16x16_f16 v[152:159], v[176:183], v[168:175], v[144:151]
	.loc	1 104 23                        ; attention_bwd.py:104:23 @[ attention_bwd.py:253:40 ]
	s_clause 0x1                            ; 32-byte Folded Reload
	scratch_load_b128 v[144:147], off, off offset:4
	scratch_load_b128 v[148:151], off, off offset:20
	s_waitcnt vmcnt(0)
	v_wmma_f32_16x16x16_f16 v[89:96], v[113:120], v[144:151], v[89:96]
	s_clause 0x1                            ; 32-byte Folded Reload
	scratch_load_b128 v[144:147], off, off offset:100
	scratch_load_b128 v[148:151], off, off offset:116
	v_wmma_f32_16x16x16_f16 v[89:96], v[136:143], v[232:239], v[89:96]
	s_delay_alu instid0(VALU_DEP_1) | instskip(NEXT) | instid1(VALU_DEP_1)
	v_wmma_f32_16x16x16_f16 v[89:96], v[70:77], v[48:55], v[89:96]
	.loc	1 105 30                        ; attention_bwd.py:105:30 @[ attention_bwd.py:253:40 ]
	v_sub_f32_e32 v64, v89, v252
	s_delay_alu instid0(VALU_DEP_2) | instskip(NEXT) | instid1(VALU_DEP_3)
	v_sub_f32_e32 v65, v90, v252
	v_sub_f32_e32 v67, v92, v252
	s_delay_alu instid0(VALU_DEP_3)
	.loc	1 105 25 is_stmt 0              ; attention_bwd.py:105:25 @[ attention_bwd.py:253:40 ]
	v_exp_f32_e32 v64, v64
	.loc	1 104 23 is_stmt 1              ; attention_bwd.py:104:23 @[ attention_bwd.py:253:40 ]
	s_waitcnt vmcnt(0)
	v_wmma_f32_16x16x16_f16 v[97:104], v[113:120], v[144:151], v[97:104]
	.loc	1 112 24                        ; attention_bwd.py:112:24 @[ attention_bwd.py:253:40 ]
	s_clause 0x1                            ; 32-byte Folded Reload
	scratch_load_b128 v[113:116], off, off offset:356
	scratch_load_b128 v[117:120], off, off offset:372
	.loc	1 104 23                        ; attention_bwd.py:104:23 @[ attention_bwd.py:253:40 ]
	v_wmma_f32_16x16x16_f16 v[97:104], v[136:143], v[78:85], v[97:104]
	.loc	1 112 24                        ; attention_bwd.py:112:24 @[ attention_bwd.py:253:40 ]
	s_clause 0x1                            ; 32-byte Folded Reload
	scratch_load_b128 v[78:81], off, off offset:68
	scratch_load_b128 v[82:85], off, off offset:84
	.loc	1 104 23                        ; attention_bwd.py:104:23 @[ attention_bwd.py:253:40 ]
	v_wmma_f32_16x16x16_f16 v[97:104], v[70:77], v[32:39], v[97:104]
	.loc	1 105 30                        ; attention_bwd.py:105:30 @[ attention_bwd.py:253:40 ]
	v_dual_sub_f32 v71, v96, v252 :: v_dual_mov_b32 v142, v134
	.loc	1 112 24                        ; attention_bwd.py:112:24 @[ attention_bwd.py:253:40 ]
	s_waitcnt vmcnt(2)
	v_wmma_f32_16x16x16_f16 v[105:112], v[192:199], v[113:120], v[105:112]
	s_clause 0x1                            ; 32-byte Folded Reload
	scratch_load_b128 v[113:116], off, off offset:388
	scratch_load_b128 v[117:120], off, off offset:404
	s_waitcnt vmcnt(2)
	v_wmma_f32_16x16x16_f16 v[105:112], v[208:215], v[78:85], v[105:112]
	scratch_load_b32 v82, off, off offset:1296 ; 4-byte Folded Reload
	v_wmma_f32_16x16x16_f16 v[105:112], v[121:128], v[216:223], v[105:112]
	.loc	1 105 30                        ; attention_bwd.py:105:30 @[ attention_bwd.py:253:40 ]
	v_sub_f32_e32 v69, v94, v252
	v_sub_f32_e32 v66, v91, v252
	;; [unrolled: 1-line block ×3, first 2 shown]
	s_delay_alu instid0(VALU_DEP_4)
	v_dual_sub_f32 v70, v95, v252 :: v_dual_sub_f32 v77, v110, v130
	.loc	1 113 23                        ; attention_bwd.py:113:23 @[ attention_bwd.py:253:40 ]
	v_sub_f32_e32 v72, v105, v130
	v_sub_f32_e32 v73, v106, v130
	;; [unrolled: 1-line block ×5, first 2 shown]
	.loc	1 114 19                        ; attention_bwd.py:114:19 @[ attention_bwd.py:253:40 ]
	v_fma_mixlo_f16 v72, v64, v72, 0
	.loc	1 105 25                        ; attention_bwd.py:105:25 @[ attention_bwd.py:253:40 ]
	v_exp_f32_e32 v64, v65
	.loc	1 113 23                        ; attention_bwd.py:113:23 @[ attention_bwd.py:253:40 ]
	v_sub_f32_e32 v89, v111, v130
	v_sub_f32_e32 v90, v112, v130
	.loc	1 114 19                        ; attention_bwd.py:114:19 @[ attention_bwd.py:253:40 ]
	s_waitcnt_depctr depctr_va_vdst(0)
	v_fma_mixhi_f16 v72, v64, v73, 0
	.loc	1 105 25                        ; attention_bwd.py:105:25 @[ attention_bwd.py:253:40 ]
	v_exp_f32_e32 v64, v66
	s_delay_alu instid0(VALU_DEP_1)
	.loc	1 114 19                        ; attention_bwd.py:114:19 @[ attention_bwd.py:253:40 ]
	v_permlanex16_b32 v65, v72, s14, 0xfedcba98 op_sel:[1,0]
	s_waitcnt_depctr depctr_va_vdst(0)
	v_fma_mixlo_f16 v73, v64, v74, 0
	.loc	1 105 25                        ; attention_bwd.py:105:25 @[ attention_bwd.py:253:40 ]
	v_exp_f32_e32 v64, v67
	.loc	1 114 19                        ; attention_bwd.py:114:19 @[ attention_bwd.py:253:40 ]
	s_waitcnt_depctr depctr_va_vdst(0)
	v_fma_mixhi_f16 v73, v64, v75, 0
	.loc	1 105 25                        ; attention_bwd.py:105:25 @[ attention_bwd.py:253:40 ]
	v_exp_f32_e32 v64, v68
	s_delay_alu instid0(VALU_DEP_1) | instskip(NEXT) | instid1(VALU_DEP_1)
	.loc	1 114 19                        ; attention_bwd.py:114:19 @[ attention_bwd.py:253:40 ]
	v_permlanex16_b32 v67, v73, s14, 0xfedcba98 op_sel:[1,0]
	v_perm_b32 v66, v67, v73, v129
	s_waitcnt_depctr depctr_va_vdst(0)
	v_fma_mixlo_f16 v74, v64, v76, 0
	.loc	1 105 25                        ; attention_bwd.py:105:25 @[ attention_bwd.py:253:40 ]
	v_exp_f32_e32 v64, v69
	.loc	1 114 19                        ; attention_bwd.py:114:19 @[ attention_bwd.py:253:40 ]
	v_perm_b32 v67, v67, v73, v241
	s_waitcnt_depctr depctr_va_vdst(0)
	v_fma_mixhi_f16 v74, v64, v77, 0
	.loc	1 105 25                        ; attention_bwd.py:105:25 @[ attention_bwd.py:253:40 ]
	v_exp_f32_e32 v64, v70
	s_delay_alu instid0(VALU_DEP_1) | instskip(NEXT) | instid1(VALU_DEP_1)
	.loc	1 114 19                        ; attention_bwd.py:114:19 @[ attention_bwd.py:253:40 ]
	v_permlanex16_b32 v69, v74, s14, 0xfedcba98 op_sel:[1,0]
	v_perm_b32 v68, v69, v74, v129
	s_waitcnt_depctr depctr_va_vdst(0)
	v_fma_mixlo_f16 v75, v64, v89, 0
	.loc	1 105 25                        ; attention_bwd.py:105:25 @[ attention_bwd.py:253:40 ]
	v_exp_f32_e32 v64, v71
	.loc	1 114 19                        ; attention_bwd.py:114:19 @[ attention_bwd.py:253:40 ]
	v_perm_b32 v69, v69, v74, v241
	s_waitcnt_depctr depctr_va_vdst(0)
	v_fma_mixhi_f16 v75, v64, v90, 0
	v_perm_b32 v64, v65, v72, v129
	v_perm_b32 v65, v65, v72, v241
	s_delay_alu instid0(VALU_DEP_3) | instskip(NEXT) | instid1(VALU_DEP_1)
	v_permlanex16_b32 v71, v75, s14, 0xfedcba98 op_sel:[1,0]
	v_perm_b32 v70, v71, v75, v129
	v_perm_b32 v71, v71, v75, v241
	.loc	1 112 24                        ; attention_bwd.py:112:24 @[ attention_bwd.py:253:40 ]
	s_waitcnt vmcnt(1)
	v_wmma_f32_16x16x16_f16 v[152:159], v[192:199], v[113:120], v[152:159]
	s_delay_alu instid0(VALU_DEP_1) | instskip(NEXT) | instid1(VALU_DEP_1)
	v_wmma_f32_16x16x16_f16 v[152:159], v[208:215], v[224:231], v[152:159]
	v_wmma_f32_16x16x16_f16 v[152:159], v[121:128], v[8:15], v[152:159]
	.loc	1 117 25                        ; attention_bwd.py:117:25 @[ attention_bwd.py:253:40 ]
	ds_load_b128 v[89:92], v250 offset:32
	ds_load_b128 v[93:96], v250 offset:48
	;; [unrolled: 1-line block ×8, first 2 shown]
	.loc	1 113 23                        ; attention_bwd.py:113:23 @[ attention_bwd.py:253:40 ]
	v_sub_f32_e32 v72, v152, v131
	v_sub_f32_e32 v73, v153, v131
	;; [unrolled: 1-line block ×6, first 2 shown]
	.loc	1 117 25                        ; attention_bwd.py:117:25 @[ attention_bwd.py:253:40 ]
	s_waitcnt lgkmcnt(6)
	v_wmma_f32_16x16x16_f16 v[56:63], v[89:96], v[64:71], v[56:63]
	s_clause 0x1                            ; 32-byte Folded Spill
	scratch_store_b128 off, v[56:59], off offset:452
	scratch_store_b128 off, v[60:63], off offset:468
	s_waitcnt lgkmcnt(4)
	v_wmma_f32_16x16x16_f16 v[0:7], v[105:112], v[64:71], v[0:7]
	s_waitcnt lgkmcnt(2)
	v_wmma_f32_16x16x16_f16 v[16:23], v[113:120], v[64:71], v[16:23]
	;; [unrolled: 2-line block ×3, first 2 shown]
	.loc	1 105 30                        ; attention_bwd.py:105:30 @[ attention_bwd.py:253:40 ]
	v_sub_f32_e32 v64, v97, v253
	v_sub_f32_e32 v65, v98, v253
	;; [unrolled: 1-line block ×5, first 2 shown]
	.loc	1 105 25 is_stmt 0              ; attention_bwd.py:105:25 @[ attention_bwd.py:253:40 ]
	v_exp_f32_e32 v64, v64
	.loc	1 105 30                        ; attention_bwd.py:105:30 @[ attention_bwd.py:253:40 ]
	v_sub_f32_e32 v69, v102, v253
	v_sub_f32_e32 v70, v103, v253
	;; [unrolled: 1-line block ×3, first 2 shown]
	.loc	1 113 23 is_stmt 1              ; attention_bwd.py:113:23 @[ attention_bwd.py:253:40 ]
	v_sub_f32_e32 v97, v158, v131
	v_sub_f32_e32 v98, v159, v131
	s_clause 0x1                            ; 32-byte Folded Spill
	scratch_store_b128 off, v[0:3], off offset:548
	scratch_store_b128 off, v[4:7], off offset:564
	s_clause 0x3                            ; 16-byte Folded Reload
	scratch_load_b32 v99, off, off offset:1276
	scratch_load_b32 v102, off, off offset:1268
	;; [unrolled: 1-line block ×4, first 2 shown]
	.loc	1 114 19                        ; attention_bwd.py:114:19 @[ attention_bwd.py:253:40 ]
	v_fma_mixlo_f16 v72, v64, v72, 0
	.loc	1 105 25                        ; attention_bwd.py:105:25 @[ attention_bwd.py:253:40 ]
	v_exp_f32_e32 v64, v65
	s_clause 0x3                            ; 16-byte Folded Reload
	scratch_load_b32 v101, off, off offset:1256
	scratch_load_b32 v146, off, off offset:1272
	;; [unrolled: 1-line block ×4, first 2 shown]
	s_clause 0x3                            ; 64-byte Folded Spill
	scratch_store_b128 off, v[16:19], off offset:516
	scratch_store_b128 off, v[20:23], off offset:532
	;; [unrolled: 1-line block ×4, first 2 shown]
	.loc	1 114 19                        ; attention_bwd.py:114:19 @[ attention_bwd.py:253:40 ]
	v_fma_mixhi_f16 v72, v64, v73, 0
	.loc	1 105 25                        ; attention_bwd.py:105:25 @[ attention_bwd.py:253:40 ]
	v_exp_f32_e32 v64, v66
	s_delay_alu instid0(VALU_DEP_1)
	.loc	1 114 19                        ; attention_bwd.py:114:19 @[ attention_bwd.py:253:40 ]
	v_permlanex16_b32 v65, v72, s14, 0xfedcba98 op_sel:[1,0]
	s_waitcnt_depctr depctr_va_vdst(0)
	v_fma_mixlo_f16 v73, v64, v74, 0
	.loc	1 105 25                        ; attention_bwd.py:105:25 @[ attention_bwd.py:253:40 ]
	v_exp_f32_e32 v64, v67
	.loc	1 114 19                        ; attention_bwd.py:114:19 @[ attention_bwd.py:253:40 ]
	s_waitcnt_depctr depctr_va_vdst(0)
	v_fma_mixhi_f16 v73, v64, v75, 0
	.loc	1 105 25                        ; attention_bwd.py:105:25 @[ attention_bwd.py:253:40 ]
	v_exp_f32_e32 v64, v68
	s_delay_alu instid0(VALU_DEP_1) | instskip(NEXT) | instid1(VALU_DEP_1)
	.loc	1 114 19                        ; attention_bwd.py:114:19 @[ attention_bwd.py:253:40 ]
	v_permlanex16_b32 v67, v73, s14, 0xfedcba98 op_sel:[1,0]
	v_perm_b32 v66, v67, v73, v129
	s_waitcnt_depctr depctr_va_vdst(0)
	v_fma_mixlo_f16 v74, v64, v76, 0
	.loc	1 105 25                        ; attention_bwd.py:105:25 @[ attention_bwd.py:253:40 ]
	v_exp_f32_e32 v64, v69
	.loc	1 114 19                        ; attention_bwd.py:114:19 @[ attention_bwd.py:253:40 ]
	v_perm_b32 v67, v67, v73, v241
	s_waitcnt_depctr depctr_va_vdst(0)
	v_fma_mixhi_f16 v74, v64, v77, 0
	.loc	1 105 25                        ; attention_bwd.py:105:25 @[ attention_bwd.py:253:40 ]
	v_exp_f32_e32 v64, v70
	s_delay_alu instid0(VALU_DEP_1) | instskip(NEXT) | instid1(VALU_DEP_1)
	.loc	1 114 19                        ; attention_bwd.py:114:19 @[ attention_bwd.py:253:40 ]
	v_permlanex16_b32 v69, v74, s14, 0xfedcba98 op_sel:[1,0]
	v_perm_b32 v68, v69, v74, v129
	s_waitcnt_depctr depctr_va_vdst(0)
	v_fma_mixlo_f16 v75, v64, v97, 0
	.loc	1 105 25                        ; attention_bwd.py:105:25 @[ attention_bwd.py:253:40 ]
	v_exp_f32_e32 v64, v71
	.loc	1 114 19                        ; attention_bwd.py:114:19 @[ attention_bwd.py:253:40 ]
	v_perm_b32 v69, v69, v74, v241
	s_waitcnt_depctr depctr_va_vdst(0)
	v_fma_mixhi_f16 v75, v64, v98, 0
	v_perm_b32 v64, v65, v72, v129
	v_perm_b32 v65, v65, v72, v241
	s_clause 0x2                            ; 12-byte Folded Reload
	scratch_load_b32 v98, off, off offset:1240
	scratch_load_b32 v144, off, off offset:1172
	;; [unrolled: 1-line block ×3, first 2 shown]
	v_permlanex16_b32 v71, v75, s14, 0xfedcba98 op_sel:[1,0]
	s_delay_alu instid0(VALU_DEP_1) | instskip(SKIP_2) | instid1(VALU_DEP_2)
	v_perm_b32 v70, v71, v75, v129
	v_perm_b32 v71, v71, v75, v241
	v_mov_b32_e32 v241, v254
	.loc	1 117 25                        ; attention_bwd.py:117:25 @[ attention_bwd.py:253:40 ]
	v_wmma_f32_16x16x16_f16 v[184:191], v[113:120], v[64:71], v[184:191]
	s_clause 0x9                            ; 64-byte Folded Reload
	scratch_load_b32 v115, off, off offset:748
	scratch_load_b32 v114, off, off offset:716
	;; [unrolled: 1-line block ×6, first 2 shown]
	scratch_load_b128 v[0:3], off, off offset:164
	scratch_load_b128 v[4:7], off, off offset:180
	scratch_load_b32 v116, off, off offset:988
	scratch_load_b32 v120, off, off offset:620
	v_wmma_f32_16x16x16_f16 v[160:167], v[105:112], v[64:71], v[160:167]
	s_clause 0x7                            ; 32-byte Folded Reload
	scratch_load_b32 v112, off, off offset:684
	scratch_load_b32 v111, off, off offset:652
	;; [unrolled: 1-line block ×8, first 2 shown]
	v_wmma_f32_16x16x16_f16 v[40:47], v[89:96], v[64:71], v[40:47]
	v_mov_b32_e32 v92, v135
	s_waitcnt vmcnt(10)
	v_wmma_f32_16x16x16_f16 v[0:7], v[121:128], v[64:71], v[0:7]
	s_clause 0x6                            ; 28-byte Folded Reload
	scratch_load_b32 v123, off, off offset:1288
	scratch_load_b32 v78, off, off offset:1248
	;; [unrolled: 1-line block ×7, first 2 shown]
	.loc	1 121 19                        ; attention_bwd.py:121:19 @[ attention_bwd.py:253:40 ]
	v_add_co_u32 v64, vcc_lo, v114, s12
	s_delay_alu instid0(VALU_DEP_1)
	v_add_co_ci_u32_e64 v65, null, s13, v115, vcc_lo
	v_dual_mov_b32 v124, v88 :: v_dual_mov_b32 v125, v255
	v_mov_b32_e32 v255, v86
	.loc	1 103 21                        ; attention_bwd.py:103:21 @[ attention_bwd.py:253:40 ]
	global_load_u16 v66, v[64:65], off
	.loc	1 121 19                        ; attention_bwd.py:121:19 @[ attention_bwd.py:253:40 ]
	s_waitcnt vmcnt(15)
	v_add_co_u32 v64, vcc_lo, v112, s12
	s_delay_alu instid0(VALU_DEP_1) | instskip(SKIP_2) | instid1(VALU_DEP_1)
	v_add_co_ci_u32_e64 v65, null, s13, v113, vcc_lo
	.loc	1 103 21                        ; attention_bwd.py:103:21 @[ attention_bwd.py:253:40 ]
	global_load_u16 v67, v[64:65], off
	.loc	1 121 19                        ; attention_bwd.py:121:19 @[ attention_bwd.py:253:40 ]
	v_add_co_u32 v64, vcc_lo, v118, s12
	v_add_co_ci_u32_e64 v65, null, s13, v119, vcc_lo
	.loc	1 103 21                        ; attention_bwd.py:103:21 @[ attention_bwd.py:253:40 ]
	global_load_u16 v68, v[64:65], off
	.loc	1 121 19                        ; attention_bwd.py:121:19 @[ attention_bwd.py:253:40 ]
	v_add_co_u32 v64, vcc_lo, v116, s12
	s_delay_alu instid0(VALU_DEP_1) | instskip(SKIP_3) | instid1(VALU_DEP_1)
	v_add_co_ci_u32_e64 v65, null, s13, v117, vcc_lo
	.loc	1 103 21                        ; attention_bwd.py:103:21 @[ attention_bwd.py:253:40 ]
	global_load_u16 v69, v[64:65], off
	.loc	1 121 19                        ; attention_bwd.py:121:19 @[ attention_bwd.py:253:40 ]
	s_waitcnt vmcnt(7)
	v_add_co_u32 v64, vcc_lo, v122, s12
	v_add_co_ci_u32_e64 v65, null, s13, v78, vcc_lo
	.loc	1 103 21                        ; attention_bwd.py:103:21 @[ attention_bwd.py:253:40 ]
	global_load_u16 v70, v[64:65], off
	.loc	1 121 19                        ; attention_bwd.py:121:19 @[ attention_bwd.py:253:40 ]
	v_add_co_u32 v64, vcc_lo, v120, s12
	s_waitcnt vmcnt(7)
	v_add_co_ci_u32_e64 v65, null, s13, v121, vcc_lo
	.loc	1 103 21                        ; attention_bwd.py:103:21 @[ attention_bwd.py:253:40 ]
	global_load_u16 v71, v[64:65], off
	.loc	1 121 19                        ; attention_bwd.py:121:19 @[ attention_bwd.py:253:40 ]
	v_add_co_u32 v64, vcc_lo, v251, s12
	s_delay_alu instid0(VALU_DEP_1) | instskip(SKIP_2) | instid1(VALU_DEP_1)
	v_add_co_ci_u32_e64 v65, null, s13, v132, vcc_lo
	.loc	1 103 21                        ; attention_bwd.py:103:21 @[ attention_bwd.py:253:40 ]
	global_load_u16 v72, v[64:65], off
	.loc	1 121 19                        ; attention_bwd.py:121:19 @[ attention_bwd.py:253:40 ]
	v_add_co_u32 v64, vcc_lo, v124, s12
	v_add_co_ci_u32_e64 v65, null, s13, v125, vcc_lo
	.loc	1 103 21                        ; attention_bwd.py:103:21 @[ attention_bwd.py:253:40 ]
	global_load_u16 v73, v[64:65], off
	.loc	1 121 19                        ; attention_bwd.py:121:19 @[ attention_bwd.py:253:40 ]
	v_add_co_u32 v64, vcc_lo, v110, s12
	s_delay_alu instid0(VALU_DEP_1) | instskip(SKIP_2) | instid1(VALU_DEP_1)
	v_add_co_ci_u32_e64 v65, null, s13, v111, vcc_lo
	.loc	1 103 21                        ; attention_bwd.py:103:21 @[ attention_bwd.py:253:40 ]
	global_load_u16 v74, v[64:65], off
	.loc	1 121 19                        ; attention_bwd.py:121:19 @[ attention_bwd.py:253:40 ]
	v_add_co_u32 v64, vcc_lo, v145, s12
	v_add_co_ci_u32_e64 v65, null, s13, v109, vcc_lo
	.loc	1 103 21                        ; attention_bwd.py:103:21 @[ attention_bwd.py:253:40 ]
	global_load_u16 v75, v[64:65], off
	.loc	1 121 19                        ; attention_bwd.py:121:19 @[ attention_bwd.py:253:40 ]
	v_add_co_u32 v64, vcc_lo, v107, s12
	s_delay_alu instid0(VALU_DEP_1) | instskip(SKIP_2) | instid1(VALU_DEP_1)
	v_add_co_ci_u32_e64 v65, null, s13, v108, vcc_lo
	.loc	1 103 21                        ; attention_bwd.py:103:21 @[ attention_bwd.py:253:40 ]
	global_load_u16 v76, v[64:65], off
	.loc	1 121 19                        ; attention_bwd.py:121:19 @[ attention_bwd.py:253:40 ]
	v_add_co_u32 v64, vcc_lo, v105, s12
	v_add_co_ci_u32_e64 v65, null, s13, v106, vcc_lo
	.loc	1 103 21                        ; attention_bwd.py:103:21 @[ attention_bwd.py:253:40 ]
	global_load_u16 v77, v[64:65], off
	.loc	1 121 19                        ; attention_bwd.py:121:19 @[ attention_bwd.py:253:40 ]
	v_add_co_u32 v64, vcc_lo, v103, s12
	s_delay_alu instid0(VALU_DEP_1) | instskip(SKIP_2) | instid1(VALU_DEP_1)
	v_add_co_ci_u32_e64 v65, null, s13, v104, vcc_lo
	.loc	1 103 21                        ; attention_bwd.py:103:21 @[ attention_bwd.py:253:40 ]
	global_load_u16 v89, v[64:65], off
	.loc	1 121 19                        ; attention_bwd.py:121:19 @[ attention_bwd.py:253:40 ]
	v_add_co_u32 v64, vcc_lo, v101, s12
	v_add_co_ci_u32_e64 v65, null, s13, v102, vcc_lo
	.loc	1 103 21                        ; attention_bwd.py:103:21 @[ attention_bwd.py:253:40 ]
	global_load_u16 v90, v[64:65], off
	.loc	1 121 19                        ; attention_bwd.py:121:19 @[ attention_bwd.py:253:40 ]
	v_add_co_u32 v64, vcc_lo, v99, s12
	s_delay_alu instid0(VALU_DEP_1) | instskip(SKIP_2) | instid1(VALU_DEP_1)
	v_add_co_ci_u32_e64 v65, null, s13, v100, vcc_lo
	.loc	1 103 21                        ; attention_bwd.py:103:21 @[ attention_bwd.py:253:40 ]
	global_load_u16 v91, v[64:65], off
	.loc	1 102 21                        ; attention_bwd.py:102:21 @[ attention_bwd.py:253:40 ]
	v_add_co_u32 v64, vcc_lo, v98, s12
	v_add_co_ci_u32_e64 v65, null, s13, v144, vcc_lo
	.loc	1 101 25                        ; attention_bwd.py:101:25 @[ attention_bwd.py:253:40 ]
	v_add_co_u32 v98, vcc_lo, v98, s2
	s_delay_alu instid0(VALU_DEP_1) | instskip(SKIP_2) | instid1(VALU_DEP_1)
	v_add_co_ci_u32_e64 v144, null, s3, v144, vcc_lo
	.loc	1 103 21                        ; attention_bwd.py:103:21 @[ attention_bwd.py:253:40 ]
	global_load_u16 v64, v[64:65], off
	.loc	1 101 25                        ; attention_bwd.py:101:25 @[ attention_bwd.py:253:40 ]
	v_add_co_u32 v99, vcc_lo, v99, s2
	v_add_co_ci_u32_e64 v100, null, s3, v100, vcc_lo
	v_add_co_u32 v101, vcc_lo, v101, s2
	s_delay_alu instid0(VALU_DEP_1) | instskip(SKIP_1) | instid1(VALU_DEP_1)
	v_add_co_ci_u32_e64 v102, null, s3, v102, vcc_lo
	v_add_co_u32 v103, vcc_lo, v103, s2
	v_add_co_ci_u32_e64 v104, null, s3, v104, vcc_lo
	v_add_co_u32 v105, vcc_lo, v105, s2
	s_delay_alu instid0(VALU_DEP_1) | instskip(SKIP_1) | instid1(VALU_DEP_1)
	v_add_co_ci_u32_e64 v106, null, s3, v106, vcc_lo
	;; [unrolled: 5-line block ×7, first 2 shown]
	v_add_co_u32 v114, vcc_lo, v114, s2
	v_add_co_ci_u32_e64 v115, null, s3, v115, vcc_lo
	v_add_co_u32 v123, vcc_lo, v123, s2
	s_delay_alu instid0(VALU_DEP_1)
	v_add_co_ci_u32_e64 v142, null, s3, v142, vcc_lo
	.loc	1 102 21                        ; attention_bwd.py:102:21 @[ attention_bwd.py:253:40 ]
	s_waitcnt vmcnt(0)
	s_waitcnt_vscnt null, 0x0
	s_barrier
	buffer_gl0_inv
	s_clause 0x5                            ; 24-byte Folded Reload
	scratch_load_b32 v8, off, off offset:1332
	scratch_load_b32 v39, off, off offset:1328
	;; [unrolled: 1-line block ×6, first 2 shown]
	.loc	1 103 21                        ; attention_bwd.py:103:21 @[ attention_bwd.py:253:40 ]
	ds_store_b16 v255, v89 offset:7168
	ds_store_b16 v255, v90 offset:7424
	;; [unrolled: 1-line block ×5, first 2 shown]
	scratch_load_b32 v67, off, off offset:840 ; 4-byte Folded Reload
	ds_store_b16 v86, v68 offset:4608
	ds_store_b16 v86, v69 offset:4864
	scratch_load_b32 v69, off, off offset:872 ; 4-byte Folded Reload
	ds_store_b16 v86, v70 offset:5120
	scratch_load_b32 v70, off, off offset:936 ; 4-byte Folded Reload
	;; [unrolled: 2-line block ×4, first 2 shown]
	ds_store_b16 v86, v73 offset:5888
	s_clause 0x1                            ; 8-byte Folded Reload
	scratch_load_b32 v73, off, off offset:976
	scratch_load_b32 v68, off, off offset:836
	ds_store_b16 v86, v74 offset:6144
	s_clause 0x2                            ; 12-byte Folded Reload
	scratch_load_b32 v74, off, off offset:980
	scratch_load_b32 v90, off, off offset:1304
	;; [unrolled: 1-line block ×3, first 2 shown]
	ds_store_b16 v86, v75 offset:6400
	scratch_load_b32 v75, off, off offset:984 ; 4-byte Folded Reload
	ds_store_b16 v86, v76 offset:6656
	ds_store_b16 v86, v77 offset:6912
	scratch_load_b32 v76, off, off offset:1120 ; 4-byte Folded Reload
	.loc	1 102 21                        ; attention_bwd.py:102:21 @[ attention_bwd.py:253:40 ]
	s_waitcnt vmcnt(17)
	ds_store_b16 v86, v8
	scratch_load_b32 v8, off, off offset:1336 ; 4-byte Folded Reload
	s_waitcnt vmcnt(0)
	ds_store_b16 v86, v8 offset:256
	scratch_load_b32 v8, off, off offset:1340 ; 4-byte Folded Reload
	s_waitcnt vmcnt(0)
	ds_store_b16 v86, v8 offset:512
	;; [unrolled: 3-line block ×15, first 2 shown]
	.loc	1 103 21                        ; attention_bwd.py:103:21 @[ attention_bwd.py:253:40 ]
	ds_store_b16 v86, v66 offset:4096
	s_clause 0x2                            ; 12-byte Folded Reload
	scratch_load_b32 v66, off, off offset:796
	scratch_load_b32 v77, off, off offset:1128
	;; [unrolled: 1-line block ×3, first 2 shown]
	.loc	1 101 25                        ; attention_bwd.py:101:25 @[ attention_bwd.py:253:40 ]
	s_waitcnt vmcnt(2)
	v_add_co_u32 v66, vcc_lo, v66, s2
	s_delay_alu instid0(VALU_DEP_1) | instskip(SKIP_1) | instid1(VALU_DEP_1)
	v_add_co_ci_u32_e64 v67, null, s3, v67, vcc_lo
	v_add_co_u32 v143, vcc_lo, v143, s2
	v_add_co_ci_u32_e64 v146, null, s3, v146, vcc_lo
	v_add_co_u32 v68, vcc_lo, v68, s2
	s_delay_alu instid0(VALU_DEP_1) | instskip(SKIP_1) | instid1(VALU_DEP_1)
	v_add_co_ci_u32_e64 v69, null, s3, v69, vcc_lo
	v_add_co_u32 v70, vcc_lo, v70, s2
	v_add_co_ci_u32_e64 v71, null, s3, v71, vcc_lo
	v_add_co_u32 v72, vcc_lo, v72, s2
	s_delay_alu instid0(VALU_DEP_1) | instskip(SKIP_4) | instid1(VALU_DEP_1)
	v_add_co_ci_u32_e64 v73, null, s3, v73, vcc_lo
	v_add_co_u32 v74, vcc_lo, v74, s2
	s_waitcnt vmcnt(1)
	v_add_co_ci_u32_e64 v77, null, s3, v77, vcc_lo
	v_add_co_u32 v75, vcc_lo, v75, s2
	v_add_co_ci_u32_e64 v76, null, s3, v76, vcc_lo
	v_add_co_u32 v82, vcc_lo, v82, s2
	s_delay_alu instid0(VALU_DEP_1) | instskip(SKIP_1) | instid1(VALU_DEP_1)
	v_add_co_ci_u32_e64 v133, null, s3, v133, vcc_lo
	v_add_co_u32 v241, vcc_lo, v241, s2
	v_add_co_ci_u32_e64 v81, null, s3, v81, vcc_lo
	s_waitcnt vmcnt(0)
	v_add_co_u32 v86, vcc_lo, v86, s2
	s_delay_alu instid0(VALU_DEP_1) | instskip(SKIP_1) | instid1(VALU_DEP_1)
	v_add_co_ci_u32_e64 v80, null, s3, v80, vcc_lo
	v_add_co_u32 v79, vcc_lo, v79, s2
	v_add_co_ci_u32_e64 v39, null, s3, v39, vcc_lo
	v_add_co_u32 v38, vcc_lo, v38, s2
	s_delay_alu instid0(VALU_DEP_1) | instskip(SKIP_1) | instid1(VALU_DEP_1)
	v_add_co_ci_u32_e64 v37, null, s3, v37, vcc_lo
	v_add_co_u32 v36, vcc_lo, v36, s2
	v_add_co_ci_u32_e64 v35, null, s3, v35, vcc_lo
	;; [unrolled: 5-line block ×3, first 2 shown]
	s_cbranch_scc1 .LBB0_210
; %bb.211:                              ; %Flow
	.loc	1 0 25 is_stmt 0                ; attention_bwd.py:0:25
	s_clause 0xc                            ; 196-byte Folded Reload
	scratch_load_b128 v[152:155], off, off offset:1464
	scratch_load_b128 v[156:159], off, off offset:1480
	;; [unrolled: 1-line block ×12, first 2 shown]
	scratch_load_b32 v254, off, off offset:1496
	v_dual_mov_b32 v48, v160 :: v_dual_mov_b32 v49, v161
	v_dual_mov_b32 v56, v184 :: v_dual_mov_b32 v57, v185
	;; [unrolled: 1-line block ×8, first 2 shown]
	s_branch .LBB0_213
.LBB0_212:
	s_clause 0x1                            ; 32-byte Folded Reload
	scratch_load_b128 v[104:107], off, off offset:388
	scratch_load_b128 v[108:111], off, off offset:404
.LBB0_213:                              ; %Flow2651
	s_clause 0x5                            ; 96-byte Folded Reload
	scratch_load_b128 v[112:115], off, off offset:100
	scratch_load_b128 v[116:119], off, off offset:116
	;; [unrolled: 1-line block ×6, first 2 shown]
	v_dual_mov_b32 v192, 0 :: v_dual_mov_b32 v209, 0
	v_dual_mov_b32 v208, 0 :: v_dual_mov_b32 v211, 0
	;; [unrolled: 1-line block ×16, first 2 shown]
	v_mov_b32_e32 v206, 0
	.loc	1 104 23 is_stmt 1              ; attention_bwd.py:104:23 @[ attention_bwd.py:253:40 ]
	s_and_b32 vcc_lo, exec_lo, s0
	.loc	1 117 25                        ; attention_bwd.py:117:25 @[ attention_bwd.py:253:40 ]
	s_waitcnt vmcnt(0) lgkmcnt(0)
	s_barrier
	buffer_gl0_inv
	s_cbranch_vccnz .LBB0_215
; %bb.214:
	.loc	1 0 25 is_stmt 0                ; attention_bwd.py:0:25
	s_clause 0x1                            ; 32-byte Folded Reload
	scratch_load_b128 v[89:92], off, off offset:420
	scratch_load_b128 v[93:96], off, off offset:436
	.loc	1 102 21 is_stmt 1              ; attention_bwd.py:102:21 @[ attention_bwd.py:253:40 ]
	ds_load_u16 v69, v240 offset:640
	ds_load_u16 v75, v240 offset:416
	;; [unrolled: 1-line block ×13, first 2 shown]
	s_mov_b32 s4, 0
	s_waitcnt lgkmcnt(12)
	ds_load_u16_d16_hi v69, v240 offset:704
	s_waitcnt lgkmcnt(12)
	ds_load_u16_d16_hi v75, v240 offset:480
	ds_load_u16 v66, v240 offset:256
	ds_load_u16 v72, v240 offset:32
	ds_load_u16 v64, v240
	ds_load_u16 v73, v240 offset:160
	s_waitcnt lgkmcnt(16)
	ds_load_u16_d16_hi v68, v240 offset:576
	s_waitcnt lgkmcnt(16)
	ds_load_u16_d16_hi v67, v240 offset:448
	ds_load_u16 v81, v240 offset:1152
	s_waitcnt lgkmcnt(17)
	ds_load_u16_d16_hi v70, v240 offset:832
	s_waitcnt lgkmcnt(16)
	ds_load_u16_d16_hi v77, v240 offset:736
	;; [unrolled: 2-line block ×5, first 2 shown]
	ds_load_u16 v88, v240 offset:1056
	s_waitcnt lgkmcnt(16)
	ds_load_u16_d16_hi v80, v240 offset:1088
	ds_load_u16_d16_hi v71, v240 offset:960
	s_waitcnt lgkmcnt(17)
	ds_load_u16_d16_hi v65, v240 offset:192
	.loc	1 104 23                        ; attention_bwd.py:104:23 @[ attention_bwd.py:253:40 ]
	s_mov_b32 s11, s4
	s_mov_b32 s5, s4
	;; [unrolled: 1-line block ×6, first 2 shown]
	.loc	1 102 21                        ; attention_bwd.py:102:21 @[ attention_bwd.py:253:40 ]
	s_waitcnt lgkmcnt(14)
	ds_load_u16_d16_hi v72, v240 offset:96
	s_waitcnt lgkmcnt(14)
	ds_load_u16_d16_hi v64, v240 offset:64
	ds_load_u16_d16_hi v66, v240 offset:320
	;; [unrolled: 1-line block ×3, first 2 shown]
	s_waitcnt lgkmcnt(16)
	ds_load_u16_d16_hi v73, v240 offset:224
	.loc	1 104 23                        ; attention_bwd.py:104:23 @[ attention_bwd.py:253:40 ]
	s_mov_b32 s10, s4
	s_delay_alu instid0(SALU_CYCLE_1) | instskip(SKIP_4) | instid1(VALU_DEP_1)
	v_dual_mov_b32 v207, s11 :: v_dual_mov_b32 v206, s10
	v_dual_mov_b32 v205, s9 :: v_dual_mov_b32 v204, s8
	;; [unrolled: 1-line block ×4, first 2 shown]
	s_waitcnt vmcnt(0) lgkmcnt(2)
	v_wmma_f32_16x16x16_f16 v[208:215], v[64:71], v[89:96], v[200:207]
	s_waitcnt lgkmcnt(0)
	v_wmma_f32_16x16x16_f16 v[216:223], v[72:79], v[89:96], v[200:207]
	s_clause 0x1                            ; 32-byte Folded Reload
	scratch_load_b128 v[89:92], off, off offset:36
	scratch_load_b128 v[93:96], off, off offset:52
	s_waitcnt vmcnt(0)
	v_wmma_f32_16x16x16_f16 v[224:231], v[64:71], v[89:96], v[200:207]
	v_wmma_f32_16x16x16_f16 v[200:207], v[72:79], v[89:96], v[200:207]
	s_clause 0x1                            ; 32-byte Folded Reload
	scratch_load_b128 v[96:99], off, off offset:4
	scratch_load_b128 v[100:103], off, off offset:20
	.loc	1 102 21                        ; attention_bwd.py:102:21 @[ attention_bwd.py:253:40 ]
	ds_load_u16 v95, v240 offset:1952
	ds_load_u16 v64, v240 offset:2048
	;; [unrolled: 1-line block ×12, first 2 shown]
	s_waitcnt lgkmcnt(11)
	ds_load_u16_d16_hi v95, v240 offset:2016
	s_waitcnt lgkmcnt(11)
	ds_load_u16_d16_hi v64, v240 offset:2112
	ds_load_u16 v86, v240 offset:1792
	ds_load_u16 v89, v240 offset:1184
	;; [unrolled: 1-line block ×3, first 2 shown]
	s_waitcnt lgkmcnt(14)
	ds_load_u16_d16_hi v83, v240 offset:1472
	s_waitcnt lgkmcnt(14)
	ds_load_u16_d16_hi v90, v240 offset:1376
	;; [unrolled: 2-line block ×7, first 2 shown]
	ds_load_u16 v74, v240 offset:2336
	ds_load_u16 v72, v240 offset:2080
	s_waitcnt lgkmcnt(15)
	ds_load_u16_d16_hi v94, v240 offset:1888
	s_waitcnt lgkmcnt(15)
	ds_load_u16_d16_hi v93, v240 offset:1760
	;; [unrolled: 2-line block ×5, first 2 shown]
	ds_load_u16_d16_hi v81, v240 offset:1216
	ds_load_u16_d16_hi v88, v240 offset:1120
	.loc	1 104 23                        ; attention_bwd.py:104:23 @[ attention_bwd.py:253:40 ]
	s_waitcnt lgkmcnt(1)
	v_wmma_f32_16x16x16_f16 v[224:231], v[80:87], v[112:119], v[224:231]
	s_waitcnt lgkmcnt(0)
	v_wmma_f32_16x16x16_f16 v[200:207], v[88:95], v[112:119], v[200:207]
	s_waitcnt vmcnt(0)
	v_wmma_f32_16x16x16_f16 v[216:223], v[88:95], v[96:103], v[216:223]
	s_clause 0x1                            ; 32-byte Folded Reload
	scratch_load_b128 v[88:91], off, off offset:228
	scratch_load_b128 v[92:95], off, off offset:244
	v_wmma_f32_16x16x16_f16 v[208:215], v[80:87], v[96:103], v[208:215]
	.loc	1 102 21                        ; attention_bwd.py:102:21 @[ attention_bwd.py:253:40 ]
	ds_load_u16 v103, v240 offset:4000
	ds_load_u16 v66, v240 offset:2304
	ds_load_u16 v80, v240 offset:3072
	ds_load_u16 v81, v240 offset:3200
	ds_load_u16 v82, v240 offset:3328
	ds_load_u16 v79, v240 offset:2976
	ds_load_u16 v73, v240 offset:2208
	ds_load_u16 v67, v240 offset:2432
	ds_load_u16 v68, v240 offset:2560
	ds_load_u16 v75, v240 offset:2464
	ds_load_u16 v99, v240 offset:3488
	ds_load_u16 v84, v240 offset:3584
	ds_load_u16 v98, v240 offset:3360
	ds_load_u16 v83, v240 offset:3456
	ds_load_u16 v102, v240 offset:3872
	ds_load_u16 v86, v240 offset:3840
	ds_load_u16 v100, v240 offset:3616
	ds_load_u16 v87, v240 offset:3968
	s_waitcnt lgkmcnt(17)
	ds_load_u16_d16_hi v103, v240 offset:4064
	ds_load_u16 v85, v240 offset:3712
	ds_load_u16 v71, v240 offset:2944
	;; [unrolled: 1-line block ×6, first 2 shown]
	s_waitcnt lgkmcnt(19)
	ds_load_u16_d16_hi v79, v240 offset:3040
	ds_load_u16 v70, v240 offset:2816
	ds_load_u16 v101, v240 offset:3744
	s_waitcnt lgkmcnt(20)
	ds_load_u16_d16_hi v67, v240 offset:2496
	ds_load_u16_d16_hi v74, v240 offset:2400
	;; [unrolled: 1-line block ×3, first 2 shown]
	s_waitcnt lgkmcnt(22)
	ds_load_u16_d16_hi v68, v240 offset:2624
	s_waitcnt lgkmcnt(22)
	ds_load_u16_d16_hi v75, v240 offset:2528
	ds_load_u16 v96, v240 offset:3104
	ds_load_u16 v97, v240 offset:3232
	s_waitcnt lgkmcnt(21)
	ds_load_u16_d16_hi v83, v240 offset:3520
	ds_load_u16_d16_hi v98, v240 offset:3424
	;; [unrolled: 1-line block ×4, first 2 shown]
	s_waitcnt lgkmcnt(19)
	ds_load_u16_d16_hi v85, v240 offset:3776
	ds_load_u16_d16_hi v100, v240 offset:3680
	s_waitcnt lgkmcnt(19)
	ds_load_u16_d16_hi v69, v240 offset:2752
	s_waitcnt lgkmcnt(19)
	ds_load_u16_d16_hi v76, v240 offset:2656
	ds_load_u16_d16_hi v71, v240 offset:3008
	s_waitcnt lgkmcnt(20)
	ds_load_u16_d16_hi v78, v240 offset:2912
	s_waitcnt lgkmcnt(20)
	;; [unrolled: 2-line block ×3, first 2 shown]
	ds_load_u16_d16_hi v70, v240 offset:2880
	ds_load_u16_d16_hi v66, v240 offset:2368
	;; [unrolled: 1-line block ×5, first 2 shown]
	s_waitcnt lgkmcnt(23)
	ds_load_u16_d16_hi v101, v240 offset:3808
	ds_load_u16_d16_hi v86, v240 offset:3904
	;; [unrolled: 1-line block ×6, first 2 shown]
	s_waitcnt lgkmcnt(22)
	ds_load_u16_d16_hi v97, v240 offset:3296
	ds_load_u16_d16_hi v96, v240 offset:3168
	.loc	1 104 23                        ; attention_bwd.py:104:23 @[ attention_bwd.py:253:40 ]
	s_waitcnt vmcnt(0) lgkmcnt(8)
	v_wmma_f32_16x16x16_f16 v[208:215], v[64:71], v[88:95], v[208:215]
	v_wmma_f32_16x16x16_f16 v[216:223], v[72:79], v[88:95], v[216:223]
	s_clause 0x1                            ; 32-byte Folded Reload
	scratch_load_b128 v[88:91], off, off offset:196
	scratch_load_b128 v[92:95], off, off offset:212
	s_waitcnt lgkmcnt(2)
	v_wmma_f32_16x16x16_f16 v[208:215], v[80:87], v[132:139], v[208:215]
	s_waitcnt lgkmcnt(0)
	v_wmma_f32_16x16x16_f16 v[216:223], v[96:103], v[132:139], v[216:223]
	s_waitcnt vmcnt(0)
	v_wmma_f32_16x16x16_f16 v[224:231], v[64:71], v[88:95], v[224:231]
	v_wmma_f32_16x16x16_f16 v[200:207], v[72:79], v[88:95], v[200:207]
	s_delay_alu instid0(VALU_DEP_2) | instskip(NEXT) | instid1(VALU_DEP_2)
	v_wmma_f32_16x16x16_f16 v[224:231], v[80:87], v[120:127], v[224:231]
	v_wmma_f32_16x16x16_f16 v[200:207], v[96:103], v[120:127], v[200:207]
.LBB0_215:
	.loc	1 0 23 is_stmt 0                ; attention_bwd.py:0:23
	v_dual_mov_b32 v193, 0 :: v_dual_mov_b32 v194, 0
	v_dual_mov_b32 v195, 0 :: v_dual_mov_b32 v196, 0
	;; [unrolled: 1-line block ×15, first 2 shown]
	v_mov_b32_e32 v127, 0
	.loc	1 112 24 is_stmt 1              ; attention_bwd.py:112:24 @[ attention_bwd.py:253:40 ]
	s_and_b32 vcc_lo, exec_lo, s0
	s_cbranch_vccnz .LBB0_217
; %bb.216:
	.loc	1 0 0 is_stmt 0                 ; attention_bwd.py:0 @[ attention_bwd.py:253:40 ]
	ds_load_u16 v64, v240 offset:4096
	ds_load_u16 v72, v240 offset:4128
	;; [unrolled: 1-line block ×32, first 2 shown]
	.loc	1 112 24                        ; attention_bwd.py:112:24 @[ attention_bwd.py:253:40 ]
	s_waitcnt lgkmcnt(21)
	v_perm_b32 v71, v68, v67, 0x5040100
	s_waitcnt lgkmcnt(20)
	v_perm_b32 v70, v69, v66, 0x5040100
	;; [unrolled: 2-line block ×4, first 2 shown]
	v_perm_b32 v65, v74, v65, 0x5040100
	s_mov_b32 s4, 0
	s_waitcnt lgkmcnt(14)
	v_perm_b32 v66, v83, v79, 0x5040100
	s_waitcnt lgkmcnt(12)
	v_perm_b32 v67, v85, v84, 0x5040100
	s_mov_b32 s11, s4
	s_waitcnt lgkmcnt(10)
	v_perm_b32 v75, v86, v87, 0x5040100
	s_mov_b32 s5, s4
	;; [unrolled: 3-line block ×3, first 2 shown]
	s_waitcnt lgkmcnt(6)
	v_perm_b32 v77, v90, v91, 0x5040100
	s_clause 0x1                            ; 32-byte Folded Reload
	scratch_load_b128 v[84:87], off, off offset:324
	scratch_load_b128 v[88:91], off, off offset:340
	s_mov_b32 s7, s4
	s_mov_b32 s8, s4
	;; [unrolled: 1-line block ×4, first 2 shown]
	s_delay_alu instid0(SALU_CYCLE_1)
	v_dual_mov_b32 v128, s11 :: v_dual_mov_b32 v127, s10
	v_perm_b32 v64, v73, v64, 0x5040100
	s_waitcnt lgkmcnt(2)
	v_perm_b32 v79, v94, v95, 0x5040100
	s_waitcnt lgkmcnt(0)
	v_perm_b32 v78, v96, v97, 0x5040100
	v_perm_b32 v76, v92, v93, 0x5040100
	v_dual_mov_b32 v126, s9 :: v_dual_mov_b32 v125, s8
	v_dual_mov_b32 v124, s7 :: v_dual_mov_b32 v123, s6
	;; [unrolled: 1-line block ×3, first 2 shown]
	v_perm_b32 v73, v80, v81, 0x5040100
	v_perm_b32 v72, v82, v72, 0x5040100
	.loc	1 0 0                           ; attention_bwd.py:0 @[ attention_bwd.py:253:40 ]
	ds_load_u16 v80, v240 offset:5632
	ds_load_u16 v81, v240 offset:5696
	;; [unrolled: 1-line block ×8, first 2 shown]
	s_clause 0x1                            ; 32-byte Folded Reload
	scratch_load_b128 v[113:116], off, off offset:68
	scratch_load_b128 v[117:120], off, off offset:84
	.loc	1 112 24                        ; attention_bwd.py:112:24 @[ attention_bwd.py:253:40 ]
	s_waitcnt vmcnt(2)
	v_wmma_f32_16x16x16_f16 v[192:199], v[64:71], v[84:91], v[121:128]
	v_wmma_f32_16x16x16_f16 v[136:143], v[72:79], v[84:91], v[121:128]
	s_clause 0x1                            ; 32-byte Folded Reload
	scratch_load_b128 v[84:87], off, off offset:132
	scratch_load_b128 v[88:91], off, off offset:148
	s_waitcnt vmcnt(0)
	v_wmma_f32_16x16x16_f16 v[144:151], v[64:71], v[84:91], v[121:128]
	v_wmma_f32_16x16x16_f16 v[121:128], v[72:79], v[84:91], v[121:128]
	s_waitcnt lgkmcnt(4)
	v_perm_b32 v69, v83, v82, 0x5040100
	.loc	1 0 0                           ; attention_bwd.py:0 @[ attention_bwd.py:253:40 ]
	ds_load_u16 v82, v240 offset:5664
	ds_load_u16 v83, v240 offset:5600
	;; [unrolled: 1-line block ×21, first 2 shown]
	.loc	1 112 24                        ; attention_bwd.py:112:24 @[ attention_bwd.py:253:40 ]
	s_waitcnt lgkmcnt(23)
	v_perm_b32 v70, v99, v98, 0x5040100
	.loc	1 0 0                           ; attention_bwd.py:0 @[ attention_bwd.py:253:40 ]
	ds_load_u16 v85, v240 offset:5856
	ds_load_u16 v86, v240 offset:5792
	;; [unrolled: 1-line block ×3, first 2 shown]
	.loc	1 112 24                        ; attention_bwd.py:112:24 @[ attention_bwd.py:253:40 ]
	s_waitcnt lgkmcnt(24)
	v_perm_b32 v71, v101, v100, 0x5040100
	v_perm_b32 v68, v81, v80, 0x5040100
	s_waitcnt lgkmcnt(13)
	v_perm_b32 v64, v72, v64, 0x5040100
	s_waitcnt lgkmcnt(11)
	;; [unrolled: 2-line block ×4, first 2 shown]
	v_perm_b32 v66, v75, v74, 0x5040100
	v_perm_b32 v73, v91, v92, 0x5040100
	s_waitcnt lgkmcnt(5)
	v_perm_b32 v79, v76, v77, 0x5040100
	v_perm_b32 v72, v93, v94, 0x5040100
	s_clause 0x1                            ; 32-byte Folded Reload
	scratch_load_b128 v[92:95], off, off offset:356
	scratch_load_b128 v[96:99], off, off offset:372
	s_waitcnt lgkmcnt(3)
	v_perm_b32 v78, v78, v84, 0x5040100
	s_waitcnt lgkmcnt(1)
	v_perm_b32 v77, v85, v86, 0x5040100
	s_waitcnt lgkmcnt(0)
	v_perm_b32 v76, v87, v82, 0x5040100
	v_perm_b32 v75, v83, v88, 0x5040100
	v_perm_b32 v74, v89, v90, 0x5040100
	.loc	1 0 0                           ; attention_bwd.py:0 @[ attention_bwd.py:253:40 ]
	ds_load_u16 v80, v240 offset:7936
	ds_load_u16 v81, v240 offset:8000
	;; [unrolled: 1-line block ×4, first 2 shown]
	.loc	1 112 24                        ; attention_bwd.py:112:24 @[ attention_bwd.py:253:40 ]
	v_wmma_f32_16x16x16_f16 v[144:151], v[64:71], v[104:111], v[144:151]
	.loc	1 0 0                           ; attention_bwd.py:0 @[ attention_bwd.py:253:40 ]
	ds_load_u16 v83, v240 offset:6144
	ds_load_u16 v85, v240 offset:6208
	;; [unrolled: 1-line block ×8, first 2 shown]
	.loc	1 112 24                        ; attention_bwd.py:112:24 @[ attention_bwd.py:253:40 ]
	v_wmma_f32_16x16x16_f16 v[121:128], v[72:79], v[104:111], v[121:128]
	.loc	1 0 0                           ; attention_bwd.py:0 @[ attention_bwd.py:253:40 ]
	ds_load_u16 v104, v240 offset:6880
	ds_load_u16 v105, v240 offset:6816
	;; [unrolled: 1-line block ×4, first 2 shown]
	.loc	1 112 24                        ; attention_bwd.py:112:24 @[ attention_bwd.py:253:40 ]
	s_waitcnt vmcnt(0)
	v_wmma_f32_16x16x16_f16 v[136:143], v[72:79], v[92:99], v[136:143]
	.loc	1 0 0                           ; attention_bwd.py:0 @[ attention_bwd.py:253:40 ]
	ds_load_u16 v72, v240 offset:7136
	ds_load_u16 v73, v240 offset:7072
	;; [unrolled: 1-line block ×8, first 2 shown]
	.loc	1 112 24                        ; attention_bwd.py:112:24 @[ attention_bwd.py:253:40 ]
	v_wmma_f32_16x16x16_f16 v[192:199], v[64:71], v[92:99], v[192:199]
	.loc	1 0 0                           ; attention_bwd.py:0 @[ attention_bwd.py:253:40 ]
	ds_load_u16 v64, v240 offset:6912
	ds_load_u16 v65, v240 offset:7040
	;; [unrolled: 1-line block ×16, first 2 shown]
	.loc	1 112 24                        ; attention_bwd.py:112:24 @[ attention_bwd.py:253:40 ]
	s_waitcnt lgkmcnt(36)
	v_perm_b32 v79, v84, v82, 0x5040100
	s_waitcnt lgkmcnt(24)
	v_perm_b32 v84, v106, v107, 0x5040100
	v_perm_b32 v78, v81, v80, 0x5040100
	;; [unrolled: 1-line block ×4, first 2 shown]
	s_waitcnt lgkmcnt(13)
	v_perm_b32 v71, v66, v65, 0x5040100
	s_waitcnt lgkmcnt(12)
	v_perm_b32 v70, v67, v64, 0x5040100
	v_perm_b32 v65, v87, v86, 0x5040100
	s_waitcnt lgkmcnt(10)
	v_perm_b32 v69, v69, v68, 0x5040100
	;; [unrolled: 3-line block ×4, first 2 shown]
	.loc	1 0 0                           ; attention_bwd.py:0 @[ attention_bwd.py:253:40 ]
	ds_load_u16 v92, v240 offset:8160
	ds_load_u16 v93, v240 offset:8096
	;; [unrolled: 1-line block ×3, first 2 shown]
	.loc	1 112 24                        ; attention_bwd.py:112:24 @[ attention_bwd.py:253:40 ]
	s_waitcnt lgkmcnt(7)
	v_perm_b32 v67, v97, v96, 0x5040100
	.loc	1 0 0                           ; attention_bwd.py:0 @[ attention_bwd.py:253:40 ]
	ds_load_u16 v96, v240 offset:7968
	ds_load_u16 v97, v240 offset:7904
	ds_load_u16 v108, v240 offset:7840
	ds_load_u16 v109, v240 offset:7776
	.loc	1 112 24                        ; attention_bwd.py:112:24 @[ attention_bwd.py:253:40 ]
	v_perm_b32 v77, v102, v77, 0x5040100
	.loc	1 0 0                           ; attention_bwd.py:0 @[ attention_bwd.py:253:40 ]
	ds_load_u16 v102, v240 offset:7712
	.loc	1 112 24                        ; attention_bwd.py:112:24 @[ attention_bwd.py:253:40 ]
	v_perm_b32 v76, v103, v76, 0x5040100
	v_perm_b32 v86, v74, v75, 0x5040100
	;; [unrolled: 1-line block ×3, first 2 shown]
	.loc	1 0 0                           ; attention_bwd.py:0 @[ attention_bwd.py:253:40 ]
	ds_load_u16 v72, v240 offset:7552
	ds_load_u16 v73, v240 offset:7616
	;; [unrolled: 1-line block ×8, first 2 shown]
	.loc	1 112 24                        ; attention_bwd.py:112:24 @[ attention_bwd.py:253:40 ]
	s_waitcnt lgkmcnt(18)
	v_perm_b32 v83, v98, v99, 0x5040100
	s_waitcnt lgkmcnt(16)
	v_perm_b32 v82, v100, v101, 0x5040100
	.loc	1 0 0                           ; attention_bwd.py:0 @[ attention_bwd.py:253:40 ]
	ds_load_u16 v98, v240 offset:7648
	ds_load_u16 v99, v240 offset:7584
	;; [unrolled: 1-line block ×8, first 2 shown]
	.loc	1 112 24                        ; attention_bwd.py:112:24 @[ attention_bwd.py:253:40 ]
	v_wmma_f32_16x16x16_f16 v[192:199], v[64:71], v[113:120], v[192:199]
	v_wmma_f32_16x16x16_f16 v[136:143], v[80:87], v[113:120], v[136:143]
	s_waitcnt lgkmcnt(20)
	v_perm_b32 v94, v94, v96, 0x5040100
	s_waitcnt lgkmcnt(14)
	v_perm_b32 v75, v73, v72, 0x5040100
	;; [unrolled: 2-line block ×3, first 2 shown]
	v_perm_b32 v95, v92, v93, 0x5040100
	s_waitcnt lgkmcnt(10)
	v_perm_b32 v72, v104, v103, 0x5040100
	v_perm_b32 v93, v97, v108, 0x5040100
	;; [unrolled: 1-line block ×3, first 2 shown]
	s_waitcnt lgkmcnt(6)
	v_perm_b32 v91, v98, v99, 0x5040100
	s_waitcnt lgkmcnt(4)
	v_perm_b32 v90, v100, v101, 0x5040100
	s_clause 0x1                            ; 32-byte Folded Reload
	scratch_load_b128 v[96:99], off, off offset:292
	scratch_load_b128 v[100:103], off, off offset:308
	v_perm_b32 v73, v110, v105, 0x5040100
	s_waitcnt lgkmcnt(2)
	v_perm_b32 v89, v106, v107, 0x5040100
	s_waitcnt lgkmcnt(0)
	v_perm_b32 v88, v111, v112, 0x5040100
	s_waitcnt vmcnt(0)
	v_wmma_f32_16x16x16_f16 v[144:151], v[64:71], v[96:103], v[144:151]
	s_clause 0x1                            ; 32-byte Folded Reload
	scratch_load_b128 v[64:67], off, off offset:260
	scratch_load_b128 v[68:71], off, off offset:276
	v_wmma_f32_16x16x16_f16 v[121:128], v[80:87], v[96:103], v[121:128]
	v_wmma_f32_16x16x16_f16 v[144:151], v[72:79], v[152:159], v[144:151]
	s_delay_alu instid0(VALU_DEP_2)
	v_wmma_f32_16x16x16_f16 v[121:128], v[88:95], v[152:159], v[121:128]
	s_waitcnt vmcnt(0)
	v_wmma_f32_16x16x16_f16 v[192:199], v[72:79], v[64:71], v[192:199]
	v_wmma_f32_16x16x16_f16 v[136:143], v[88:95], v[64:71], v[136:143]
.LBB0_217:
	.loc	1 105 30 is_stmt 1              ; attention_bwd.py:105:30 @[ attention_bwd.py:253:40 ]
	v_dual_sub_f32 v64, v208, v252 :: v_dual_sub_f32 v81, v225, v253
	v_dual_sub_f32 v65, v209, v252 :: v_dual_sub_f32 v80, v224, v253
	;; [unrolled: 1-line block ×16, first 2 shown]
	.loc	1 105 25 is_stmt 0              ; attention_bwd.py:105:25 @[ attention_bwd.py:253:40 ]
	v_exp_f32_e32 v64, v64
	v_exp_f32_e32 v96, v66
	;; [unrolled: 1-line block ×32, first 2 shown]
	.loc	1 113 23 is_stmt 1              ; attention_bwd.py:113:23 @[ attention_bwd.py:253:40 ]
	v_dual_sub_f32 v66, v192, v130 :: v_dual_sub_f32 v113, v145, v131
	v_dual_sub_f32 v68, v194, v130 :: v_dual_sub_f32 v117, v149, v131
	;; [unrolled: 1-line block ×4, first 2 shown]
	v_sub_f32_e32 v94, v197, v130
	v_dual_sub_f32 v71, v198, v130 :: v_dual_sub_f32 v116, v148, v131
	v_dual_sub_f32 v95, v199, v130 :: v_dual_sub_f32 v114, v146, v131
	v_sub_f32_e32 v104, v136, v130
	v_dual_sub_f32 v105, v137, v130 :: v_dual_sub_f32 v118, v150, v131
	v_sub_f32_e32 v106, v138, v130
	;; [unrolled: 2-line block ×3, first 2 shown]
	v_sub_f32_e32 v109, v141, v130
	v_sub_f32_e32 v110, v142, v130
	;; [unrolled: 1-line block ×9, first 2 shown]
	v_dual_sub_f32 v92, v193, v130 :: v_dual_sub_f32 v115, v147, v131
	v_sub_f32_e32 v127, v128, v131
	.loc	1 114 19                        ; attention_bwd.py:114:19 @[ attention_bwd.py:253:40 ]
	v_fma_mixlo_f16 v66, v64, v66, 0
	v_fma_mixlo_f16 v68, v96, v68, 0
	;; [unrolled: 1-line block ×16, first 2 shown]
	v_fma_mixhi_f16 v66, v65, v92, 0
	v_fma_mixhi_f16 v68, v97, v93, 0
	;; [unrolled: 1-line block ×16, first 2 shown]
	s_mov_b32 s1, 0x76543210
	.loc	1 117 25                        ; attention_bwd.py:117:25 @[ attention_bwd.py:253:40 ]
	s_and_b32 vcc_lo, exec_lo, s0
	.loc	1 114 19                        ; attention_bwd.py:114:19 @[ attention_bwd.py:253:40 ]
	v_permlanex16_b32 v81, v66, s1, 0xfedcba98 op_sel:[1,0]
	v_permlanex16_b32 v83, v68, s1, 0xfedcba98 op_sel:[1,0]
	v_permlanex16_b32 v85, v70, s1, 0xfedcba98 op_sel:[1,0]
	v_permlanex16_b32 v86, v71, s1, 0xfedcba98 op_sel:[1,0]
	v_permlanex16_b32 v82, v67, s1, 0xfedcba98 op_sel:[1,0]
	v_permlanex16_b32 v84, v69, s1, 0xfedcba98 op_sel:[1,0]
	v_permlanex16_b32 v87, v72, s1, 0xfedcba98 op_sel:[1,0]
	v_permlanex16_b32 v88, v73, s1, 0xfedcba98 op_sel:[1,0]
	v_permlanex16_b32 v65, v64, s1, 0xfedcba98 op_sel:[1,0]
	v_permlanex16_b32 v89, v74, s1, 0xfedcba98 op_sel:[1,0]
	v_permlanex16_b32 v90, v75, s1, 0xfedcba98 op_sel:[1,0]
	v_permlanex16_b32 v91, v76, s1, 0xfedcba98 op_sel:[1,0]
	v_permlanex16_b32 v92, v77, s1, 0xfedcba98 op_sel:[1,0]
	v_permlanex16_b32 v93, v78, s1, 0xfedcba98 op_sel:[1,0]
	v_permlanex16_b32 v94, v79, s1, 0xfedcba98 op_sel:[1,0]
	v_permlanex16_b32 v95, v80, s1, 0xfedcba98 op_sel:[1,0]
	s_cbranch_vccnz .LBB0_219
; %bb.218:
	.loc	1 0 19 is_stmt 0                ; attention_bwd.py:0:19
	s_clause 0x1                            ; 8-byte Folded Reload
	scratch_load_b32 v156, off, off offset:1460
	scratch_load_b32 v176, off, off
	.loc	1 114 19                        ; attention_bwd.py:114:19 @[ attention_bwd.py:253:40 ]
	v_perm_b32 v165, v94, v79, v254
	v_perm_b32 v163, v93, v78, v254
	;; [unrolled: 1-line block ×8, first 2 shown]
	.loc	1 0 0                           ; attention_bwd.py:0 @[ attention_bwd.py:253:40 ]
	s_waitcnt vmcnt(1)
	ds_load_b128 v[96:99], v156
	ds_load_b128 v[100:103], v156 offset:16
	ds_load_b128 v[104:107], v156 offset:32
	ds_load_b128 v[108:111], v156 offset:48
	ds_load_b128 v[112:115], v156 offset:1024
	ds_load_b128 v[116:119], v156 offset:1040
	ds_load_b128 v[120:123], v156 offset:1056
	ds_load_b128 v[124:127], v156 offset:1072
	ds_load_b128 v[128:131], v156 offset:2048
	ds_load_b128 v[132:135], v156 offset:2064
	ds_load_b128 v[136:139], v156 offset:2080
	ds_load_b128 v[140:143], v156 offset:2096
	ds_load_b128 v[144:147], v156 offset:3072
	ds_load_b128 v[148:151], v156 offset:3088
	ds_load_b128 v[152:155], v156 offset:3104
	ds_load_b128 v[156:159], v156 offset:3120
	.loc	1 114 19                        ; attention_bwd.py:114:19 @[ attention_bwd.py:253:40 ]
	s_waitcnt vmcnt(0)
	v_perm_b32 v164, v94, v79, v176
	v_perm_b32 v162, v93, v78, v176
	;; [unrolled: 1-line block ×24, first 2 shown]
	.loc	1 117 25 is_stmt 1              ; attention_bwd.py:117:25 @[ attention_bwd.py:253:40 ]
	s_waitcnt lgkmcnt(14)
	v_wmma_f32_16x16x16_f16 v[8:15], v[96:103], v[168:175], v[8:15]
	s_waitcnt lgkmcnt(10)
	v_wmma_f32_16x16x16_f16 v[16:23], v[112:119], v[168:175], v[16:23]
	;; [unrolled: 2-line block ×4, first 2 shown]
	v_wmma_f32_16x16x16_f16 v[40:47], v[96:103], v[72:79], v[40:47]
	v_wmma_f32_16x16x16_f16 v[48:55], v[112:119], v[72:79], v[48:55]
	;; [unrolled: 1-line block ×7, first 2 shown]
	s_waitcnt lgkmcnt(0)
	v_wmma_f32_16x16x16_f16 v[32:39], v[152:159], v[83:90], v[32:39]
	v_wmma_f32_16x16x16_f16 v[40:47], v[104:111], v[160:167], v[40:47]
	;; [unrolled: 1-line block ×5, first 2 shown]
.Ltmp123:
.LBB0_219:
	.loc	1 0 25 is_stmt 0                ; attention_bwd.py:0:25
	scratch_load_b64 v[64:65], off, off offset:2688 ; 8-byte Folded Reload
	.loc	1 152 10 is_stmt 1              ; attention_bwd.py:152:10
	s_add_u32 s0, s18, s12
	s_addc_u32 s1, s19, s13
	s_clause 0x1f                           ; 256-byte Folded Reload
	scratch_load_b64 v[128:129], off, off offset:1500
	scratch_load_b64 v[130:131], off, off offset:1508
	;; [unrolled: 1-line block ×32, first 2 shown]
	.loc	1 257 19                        ; attention_bwd.py:257:19
	s_waitcnt vmcnt(32)
	v_add_co_u32 v126, vcc_lo, s0, v64
	s_delay_alu instid0(VALU_DEP_1) | instskip(SKIP_3) | instid1(VALU_DEP_1)
	v_add_co_ci_u32_e64 v127, null, s1, v65, vcc_lo
	scratch_load_b64 v[64:65], off, off offset:2696 ; 8-byte Folded Reload
	s_waitcnt vmcnt(0)
	v_add_co_u32 v190, vcc_lo, s0, v64
	v_add_co_ci_u32_e64 v191, null, s1, v65, vcc_lo
	.loc	1 257 50 is_stmt 0              ; attention_bwd.py:257:50
	v_add_co_u32 v64, vcc_lo, v126, v128
	s_delay_alu instid0(VALU_DEP_1) | instskip(SKIP_1) | instid1(VALU_DEP_1)
	v_add_co_ci_u32_e64 v65, null, v127, v129, vcc_lo
	v_add_co_u32 v66, vcc_lo, v126, v130
	v_add_co_ci_u32_e64 v67, null, v127, v131, vcc_lo
	v_add_co_u32 v68, vcc_lo, v126, v132
	s_delay_alu instid0(VALU_DEP_1) | instskip(SKIP_1) | instid1(VALU_DEP_1)
	v_add_co_ci_u32_e64 v69, null, v127, v133, vcc_lo
	v_add_co_u32 v70, vcc_lo, v126, v134
	v_add_co_ci_u32_e64 v71, null, v127, v135, vcc_lo
	;; [unrolled: 5-line block ×30, first 2 shown]
	v_add_co_u32 v184, vcc_lo, v190, v184
	s_mov_b32 s0, 0x3f317218
	v_add_co_ci_u32_e64 v185, null, v191, v185, vcc_lo
	v_add_co_u32 v186, vcc_lo, v190, v186
	.loc	1 259 22 is_stmt 1              ; attention_bwd.py:259:22
	v_fma_mixlo_f16 v8, v8, s0, 0
	.loc	1 257 50                        ; attention_bwd.py:257:50
	v_add_co_ci_u32_e64 v187, null, v191, v187, vcc_lo
	v_add_co_u32 v188, vcc_lo, v190, v188
	.loc	1 259 22                        ; attention_bwd.py:259:22
	v_fma_mixlo_f16 v9, v9, s0, 0
	v_fma_mixlo_f16 v10, v10, s0, 0
	.loc	1 257 50                        ; attention_bwd.py:257:50
	v_add_co_ci_u32_e64 v189, null, v191, v189, vcc_lo
	v_add_co_u32 v190, vcc_lo, v190, v192
	.loc	1 259 22                        ; attention_bwd.py:259:22
	v_fma_mixlo_f16 v11, v11, s0, 0
	v_fma_mixlo_f16 v12, v12, s0, 0
	.loc	1 257 50                        ; attention_bwd.py:257:50
	v_add_co_ci_u32_e64 v191, null, v191, v193, vcc_lo
	.loc	1 259 22                        ; attention_bwd.py:259:22
	v_fma_mixlo_f16 v13, v13, s0, 0
	v_fma_mixlo_f16 v14, v14, s0, 0
	;; [unrolled: 1-line block ×59, first 2 shown]
	s_clause 0x1f
	global_store_b16 v[64:65], v8, off
	global_store_b16 v[66:67], v9, off
	;; [unrolled: 1-line block ×32, first 2 shown]
	s_clause 0x1f
	global_store_b16 v[128:129], v40, off
	global_store_b16 v[130:131], v41, off
	;; [unrolled: 1-line block ×32, first 2 shown]
	.loc	1 259 4 is_stmt 0               ; attention_bwd.py:259:4
	s_nop 0
	s_sendmsg sendmsg(MSG_DEALLOC_VGPRS)
	s_endpgm
.Ltmp124:
	.section	.rodata,"a",@progbits
	.p2align	6, 0x0
	.amdhsa_kernel _attn_bwd
		.amdhsa_group_segment_fixed_size 0
		.amdhsa_private_segment_fixed_size 2708
		.amdhsa_kernarg_size 120
		.amdhsa_user_sgpr_count 14
		.amdhsa_user_sgpr_dispatch_ptr 0
		.amdhsa_user_sgpr_queue_ptr 0
		.amdhsa_user_sgpr_kernarg_segment_ptr 1
		.amdhsa_user_sgpr_dispatch_id 0
		.amdhsa_user_sgpr_private_segment_size 0
		.amdhsa_wavefront_size32 1
		.amdhsa_uses_dynamic_stack 0
		.amdhsa_enable_private_segment 1
		.amdhsa_system_sgpr_workgroup_id_x 1
		.amdhsa_system_sgpr_workgroup_id_y 0
		.amdhsa_system_sgpr_workgroup_id_z 1
		.amdhsa_system_sgpr_workgroup_info 0
		.amdhsa_system_vgpr_workitem_id 0
		.amdhsa_next_free_vgpr 256
		.amdhsa_next_free_sgpr 64
		.amdhsa_reserve_vcc 1
		.amdhsa_float_round_mode_32 0
		.amdhsa_float_round_mode_16_64 0
		.amdhsa_float_denorm_mode_32 3
		.amdhsa_float_denorm_mode_16_64 3
		.amdhsa_dx10_clamp 1
		.amdhsa_ieee_mode 1
		.amdhsa_fp16_overflow 0
		.amdhsa_workgroup_processor_mode 1
		.amdhsa_memory_ordered 1
		.amdhsa_forward_progress 1
		.amdhsa_shared_vgpr_count 0
		.amdhsa_inst_pref_size 63
		.amdhsa_exception_fp_ieee_invalid_op 0
		.amdhsa_exception_fp_denorm_src 0
		.amdhsa_exception_fp_ieee_div_zero 0
		.amdhsa_exception_fp_ieee_overflow 0
		.amdhsa_exception_fp_ieee_underflow 0
		.amdhsa_exception_fp_ieee_inexact 0
		.amdhsa_exception_int_div_zero 0
	.end_amdhsa_kernel
	.text
.Lfunc_end0:
	.size	_attn_bwd, .Lfunc_end0-_attn_bwd
	.cfi_endproc
                                        ; -- End function
	.set _attn_bwd.num_vgpr, 256
	.set _attn_bwd.num_agpr, 0
	.set _attn_bwd.numbered_sgpr, 64
	.set _attn_bwd.num_named_barrier, 0
	.set _attn_bwd.private_seg_size, 2708
	.set _attn_bwd.uses_vcc, 1
	.set _attn_bwd.uses_flat_scratch, 1
	.set _attn_bwd.has_dyn_sized_stack, 0
	.set _attn_bwd.has_recursion, 0
	.set _attn_bwd.has_indirect_call, 0
	.section	.AMDGPU.csdata,"",@progbits
; Kernel info:
; codeLenInByte = 91796
; TotalNumSgprs: 66
; NumVgprs: 256
; ScratchSize: 2708
; MemoryBound: 0
; FloatMode: 240
; IeeeMode: 1
; LDSByteSize: 0 bytes/workgroup (compile time only)
; SGPRBlocks: 0
; VGPRBlocks: 31
; NumSGPRsForWavesPerEU: 66
; NumVGPRsForWavesPerEU: 256
; Occupancy: 5
; WaveLimiterHint : 0
; COMPUTE_PGM_RSRC2:SCRATCH_EN: 1
; COMPUTE_PGM_RSRC2:USER_SGPR: 14
; COMPUTE_PGM_RSRC2:TRAP_HANDLER: 0
; COMPUTE_PGM_RSRC2:TGID_X_EN: 1
; COMPUTE_PGM_RSRC2:TGID_Y_EN: 0
; COMPUTE_PGM_RSRC2:TGID_Z_EN: 1
; COMPUTE_PGM_RSRC2:TIDIG_COMP_CNT: 0
	.text
	.p2alignl 7, 3214868480
	.fill 96, 4, 3214868480
	.section	.AMDGPU.gpr_maximums,"",@progbits
	.set amdgpu.max_num_vgpr, 0
	.set amdgpu.max_num_agpr, 0
	.set amdgpu.max_num_sgpr, 0
	.set amdgpu.max_num_named_barrier, 0
	.text
	.section	.debug_abbrev,"",@progbits
	.byte	1                               ; Abbreviation Code
	.byte	17                              ; DW_TAG_compile_unit
	.byte	1                               ; DW_CHILDREN_yes
	.byte	37                              ; DW_AT_producer
	.byte	14                              ; DW_FORM_strp
	.byte	19                              ; DW_AT_language
	.byte	5                               ; DW_FORM_data2
	.byte	3                               ; DW_AT_name
	.byte	14                              ; DW_FORM_strp
	.byte	16                              ; DW_AT_stmt_list
	.byte	23                              ; DW_FORM_sec_offset
	.byte	27                              ; DW_AT_comp_dir
	.byte	14                              ; DW_FORM_strp
	.byte	17                              ; DW_AT_low_pc
	.byte	1                               ; DW_FORM_addr
	.byte	18                              ; DW_AT_high_pc
	.byte	6                               ; DW_FORM_data4
	.byte	0                               ; EOM(1)
	.byte	0                               ; EOM(2)
	.byte	2                               ; Abbreviation Code
	.byte	46                              ; DW_TAG_subprogram
	.byte	0                               ; DW_CHILDREN_no
	.byte	3                               ; DW_AT_name
	.byte	14                              ; DW_FORM_strp
	.byte	32                              ; DW_AT_inline
	.byte	11                              ; DW_FORM_data1
	.byte	0                               ; EOM(1)
	.byte	0                               ; EOM(2)
	.byte	3                               ; Abbreviation Code
	.byte	46                              ; DW_TAG_subprogram
	.byte	1                               ; DW_CHILDREN_yes
	.byte	17                              ; DW_AT_low_pc
	.byte	1                               ; DW_FORM_addr
	.byte	18                              ; DW_AT_high_pc
	.byte	6                               ; DW_FORM_data4
	.byte	49                              ; DW_AT_abstract_origin
	.byte	19                              ; DW_FORM_ref4
	.byte	0                               ; EOM(1)
	.byte	0                               ; EOM(2)
	.byte	4                               ; Abbreviation Code
	.byte	29                              ; DW_TAG_inlined_subroutine
	.byte	0                               ; DW_CHILDREN_no
	.byte	49                              ; DW_AT_abstract_origin
	.byte	19                              ; DW_FORM_ref4
	.byte	85                              ; DW_AT_ranges
	.byte	23                              ; DW_FORM_sec_offset
	.byte	88                              ; DW_AT_call_file
	.byte	11                              ; DW_FORM_data1
	.byte	89                              ; DW_AT_call_line
	.byte	11                              ; DW_FORM_data1
	.byte	87                              ; DW_AT_call_column
	.byte	11                              ; DW_FORM_data1
	.byte	0                               ; EOM(1)
	.byte	0                               ; EOM(2)
	;; [unrolled: 1-line block ×3, first 2 shown]
	.section	.debug_info,"",@progbits
.Lcu_begin0:
	.long	.Ldebug_info_end0-.Ldebug_info_start0 ; Length of Unit
.Ldebug_info_start0:
	.short	4                               ; DWARF version number
	.long	.debug_abbrev                   ; Offset Into Abbrev. Section
	.byte	8                               ; Address Size (in bytes)
	.byte	1                               ; Abbrev [1] 0xb:0x68 DW_TAG_compile_unit
	.long	.Linfo_string0                  ; DW_AT_producer
	.short	2                               ; DW_AT_language
	.long	.Linfo_string1                  ; DW_AT_name
	.long	.Lline_table_start0             ; DW_AT_stmt_list
	.long	.Linfo_string2                  ; DW_AT_comp_dir
	.quad	.Lfunc_begin0                   ; DW_AT_low_pc
	.long	.Lfunc_end0-.Lfunc_begin0       ; DW_AT_high_pc
	.byte	2                               ; Abbrev [2] 0x2a:0x6 DW_TAG_subprogram
	.long	.Linfo_string3                  ; DW_AT_name
	.byte	1                               ; DW_AT_inline
	.byte	3                               ; Abbrev [3] 0x30:0x42 DW_TAG_subprogram
	.quad	.Lfunc_begin0                   ; DW_AT_low_pc
	.long	.Lfunc_end0-.Lfunc_begin0       ; DW_AT_high_pc
	.long	42                              ; DW_AT_abstract_origin
	.byte	4                               ; Abbrev [4] 0x41:0xc DW_TAG_inlined_subroutine
	.long	42                              ; DW_AT_abstract_origin
	.long	.Ldebug_ranges0                 ; DW_AT_ranges
	.byte	1                               ; DW_AT_call_file
	.byte	184                             ; DW_AT_call_line
	.byte	50                              ; DW_AT_call_column
	.byte	4                               ; Abbrev [4] 0x4d:0xc DW_TAG_inlined_subroutine
	.long	42                              ; DW_AT_abstract_origin
	.long	.Ldebug_ranges1                 ; DW_AT_ranges
	.byte	1                               ; DW_AT_call_file
	.byte	200                             ; DW_AT_call_line
	.byte	26                              ; DW_AT_call_column
	;; [unrolled: 6-line block ×4, first 2 shown]
	.byte	0                               ; End Of Children Mark
	.byte	0                               ; End Of Children Mark
.Ldebug_info_end0:
	.section	.debug_ranges,"",@progbits
.Ldebug_ranges0:
	.quad	.Ltmp1-.Lfunc_begin0
	.quad	.Ltmp2-.Lfunc_begin0
	;; [unrolled: 1-line block ×80, first 2 shown]
	.quad	0
	.quad	0
.Ldebug_ranges1:
	.quad	.Ltmp56-.Lfunc_begin0
	.quad	.Ltmp57-.Lfunc_begin0
	;; [unrolled: 1-line block ×50, first 2 shown]
	.quad	0
	.quad	0
.Ldebug_ranges2:
	.quad	.Ltmp106-.Lfunc_begin0
	.quad	.Ltmp107-.Lfunc_begin0
	;; [unrolled: 1-line block ×16, first 2 shown]
	.quad	0
	.quad	0
.Ldebug_ranges3:
	.quad	.Ltmp116-.Lfunc_begin0
	.quad	.Ltmp117-.Lfunc_begin0
	;; [unrolled: 1-line block ×6, first 2 shown]
	.quad	0
	.quad	0
	.section	.debug_str,"MS",@progbits,1
.Linfo_string0:
	.asciz	"triton"                        ; string offset=0
.Linfo_string1:
	.asciz	"attention_bwd.py"              ; string offset=7
.Linfo_string2:
	.asciz	"/root/src/amdgpu-assembly/repos/triton-lang__triton-aot" ; string offset=24
.Linfo_string3:
	.asciz	"_attn_bwd"                     ; string offset=80
	.section	".note.GNU-stack","",@progbits
	.amdgpu_metadata
---
amdhsa.kernels:
  - .args:
      - .address_space:  global
        .offset:         0
        .size:           8
        .value_kind:     global_buffer
      - .address_space:  global
        .offset:         8
        .size:           8
        .value_kind:     global_buffer
      - .address_space:  global
        .offset:         16
        .size:           8
        .value_kind:     global_buffer
      - .offset:         24
        .size:           4
        .value_kind:     by_value
      - .address_space:  global
        .offset:         32
        .size:           8
        .value_kind:     global_buffer
      - .address_space:  global
        .offset:         40
        .size:           8
        .value_kind:     global_buffer
      - .address_space:  global
        .offset:         48
        .size:           8
        .value_kind:     global_buffer
      - .address_space:  global
        .offset:         56
        .size:           8
        .value_kind:     global_buffer
      - .address_space:  global
        .offset:         64
        .size:           8
        .value_kind:     global_buffer
      - .address_space:  global
        .offset:         72
        .size:           8
        .value_kind:     global_buffer
      - .offset:         80
        .size:           4
        .value_kind:     by_value
      - .offset:         84
        .size:           4
        .value_kind:     by_value
      - .offset:         88
        .size:           4
        .value_kind:     by_value
      - .offset:         92
        .size:           4
        .value_kind:     by_value
      - .offset:         96
        .size:           4
        .value_kind:     by_value
      - .offset:         100
        .size:           4
        .value_kind:     by_value
      - .address_space:  global
        .offset:         104
        .size:           8
        .value_kind:     global_buffer
      - .address_space:  global
        .offset:         112
        .size:           8
        .value_kind:     global_buffer
    .group_segment_fixed_size: 0
    .kernarg_segment_align: 8
    .kernarg_segment_size: 120
    .max_flat_workgroup_size: 128
    .name:           _attn_bwd
    .private_segment_fixed_size: 2708
    .sgpr_count:     66
    .sgpr_spill_count: 0
    .symbol:         _attn_bwd.kd
    .uniform_work_group_size: 1
    .uses_dynamic_stack: false
    .vgpr_count:     256
    .vgpr_spill_count: 1327
    .wavefront_size: 32
    .workgroup_processor_mode: 1
amdhsa.target:   amdgcn-amd-amdhsa--gfx1100
amdhsa.version:
  - 1
  - 2
...

	.end_amdgpu_metadata
	.section	.debug_line,"",@progbits
.Lline_table_start0:
